;; amdgpu-corpus repo=ROCm/rocFFT kind=compiled arch=gfx950 opt=O3
	.text
	.amdgcn_target "amdgcn-amd-amdhsa--gfx950"
	.amdhsa_code_object_version 6
	.protected	fft_rtc_back_len1260_factors_2_2_3_3_5_7_wgs_63_tpt_63_halfLds_sp_op_CI_CI_unitstride_sbrr_dirReg ; -- Begin function fft_rtc_back_len1260_factors_2_2_3_3_5_7_wgs_63_tpt_63_halfLds_sp_op_CI_CI_unitstride_sbrr_dirReg
	.globl	fft_rtc_back_len1260_factors_2_2_3_3_5_7_wgs_63_tpt_63_halfLds_sp_op_CI_CI_unitstride_sbrr_dirReg
	.p2align	8
	.type	fft_rtc_back_len1260_factors_2_2_3_3_5_7_wgs_63_tpt_63_halfLds_sp_op_CI_CI_unitstride_sbrr_dirReg,@function
fft_rtc_back_len1260_factors_2_2_3_3_5_7_wgs_63_tpt_63_halfLds_sp_op_CI_CI_unitstride_sbrr_dirReg: ; @fft_rtc_back_len1260_factors_2_2_3_3_5_7_wgs_63_tpt_63_halfLds_sp_op_CI_CI_unitstride_sbrr_dirReg
; %bb.0:
	s_load_dwordx4 s[8:11], s[0:1], 0x58
	s_load_dwordx4 s[4:7], s[0:1], 0x0
	;; [unrolled: 1-line block ×3, first 2 shown]
	v_mul_u32_u24_e32 v1, 0x411, v0
	v_add_u32_sdwa v6, s2, v1 dst_sel:DWORD dst_unused:UNUSED_PAD src0_sel:DWORD src1_sel:WORD_1
	v_mov_b32_e32 v4, 0
	s_waitcnt lgkmcnt(0)
	v_cmp_lt_u64_e64 s[2:3], s[6:7], 2
	v_mov_b32_e32 v7, v4
	s_and_b64 vcc, exec, s[2:3]
	v_mov_b64_e32 v[2:3], 0
	s_cbranch_vccnz .LBB0_8
; %bb.1:
	s_load_dwordx2 s[2:3], s[0:1], 0x10
	s_add_u32 s16, s14, 8
	s_addc_u32 s17, s15, 0
	s_add_u32 s18, s12, 8
	s_addc_u32 s19, s13, 0
	s_waitcnt lgkmcnt(0)
	s_add_u32 s20, s2, 8
	v_mov_b64_e32 v[2:3], 0
	s_addc_u32 s21, s3, 0
	s_mov_b64 s[22:23], 1
	v_mov_b64_e32 v[12:13], v[2:3]
.LBB0_2:                                ; =>This Inner Loop Header: Depth=1
	s_load_dwordx2 s[24:25], s[20:21], 0x0
                                        ; implicit-def: $vgpr14_vgpr15
	s_waitcnt lgkmcnt(0)
	v_or_b32_e32 v5, s25, v7
	v_cmp_ne_u64_e32 vcc, 0, v[4:5]
	s_and_saveexec_b64 s[2:3], vcc
	s_xor_b64 s[26:27], exec, s[2:3]
	s_cbranch_execz .LBB0_4
; %bb.3:                                ;   in Loop: Header=BB0_2 Depth=1
	v_cvt_f32_u32_e32 v1, s24
	v_cvt_f32_u32_e32 v5, s25
	s_sub_u32 s2, 0, s24
	s_subb_u32 s3, 0, s25
	v_fmac_f32_e32 v1, 0x4f800000, v5
	v_rcp_f32_e32 v1, v1
	s_nop 0
	v_mul_f32_e32 v1, 0x5f7ffffc, v1
	v_mul_f32_e32 v5, 0x2f800000, v1
	v_trunc_f32_e32 v5, v5
	v_fmac_f32_e32 v1, 0xcf800000, v5
	v_cvt_u32_f32_e32 v5, v5
	v_cvt_u32_f32_e32 v1, v1
	v_mul_lo_u32 v8, s2, v5
	v_mul_hi_u32 v10, s2, v1
	v_mul_lo_u32 v9, s3, v1
	v_add_u32_e32 v10, v10, v8
	v_mul_lo_u32 v14, s2, v1
	v_add_u32_e32 v15, v10, v9
	v_mul_hi_u32 v8, v1, v14
	v_mul_hi_u32 v11, v1, v15
	v_mul_lo_u32 v10, v1, v15
	v_mov_b32_e32 v9, v4
	v_lshl_add_u64 v[8:9], v[8:9], 0, v[10:11]
	v_mul_hi_u32 v11, v5, v14
	v_mul_lo_u32 v14, v5, v14
	v_add_co_u32_e32 v8, vcc, v8, v14
	v_mul_hi_u32 v10, v5, v15
	s_nop 0
	v_addc_co_u32_e32 v8, vcc, v9, v11, vcc
	v_mov_b32_e32 v9, v4
	s_nop 0
	v_addc_co_u32_e32 v11, vcc, 0, v10, vcc
	v_mul_lo_u32 v10, v5, v15
	v_lshl_add_u64 v[8:9], v[8:9], 0, v[10:11]
	v_add_co_u32_e32 v1, vcc, v1, v8
	v_mul_lo_u32 v10, s2, v1
	s_nop 0
	v_addc_co_u32_e32 v5, vcc, v5, v9, vcc
	v_mul_lo_u32 v8, s2, v5
	v_mul_hi_u32 v9, s2, v1
	v_add_u32_e32 v8, v9, v8
	v_mul_lo_u32 v9, s3, v1
	v_add_u32_e32 v14, v8, v9
	v_mul_hi_u32 v16, v5, v10
	v_mul_lo_u32 v17, v5, v10
	v_mul_hi_u32 v9, v1, v14
	v_mul_lo_u32 v8, v1, v14
	v_mul_hi_u32 v10, v1, v10
	v_mov_b32_e32 v11, v4
	v_lshl_add_u64 v[8:9], v[10:11], 0, v[8:9]
	v_add_co_u32_e32 v8, vcc, v8, v17
	v_mul_hi_u32 v15, v5, v14
	s_nop 0
	v_addc_co_u32_e32 v8, vcc, v9, v16, vcc
	v_mul_lo_u32 v10, v5, v14
	s_nop 0
	v_addc_co_u32_e32 v11, vcc, 0, v15, vcc
	v_mov_b32_e32 v9, v4
	v_lshl_add_u64 v[8:9], v[8:9], 0, v[10:11]
	v_add_co_u32_e32 v1, vcc, v1, v8
	v_mul_hi_u32 v10, v6, v1
	s_nop 0
	v_addc_co_u32_e32 v5, vcc, v5, v9, vcc
	v_mad_u64_u32 v[8:9], s[2:3], v6, v5, 0
	v_mov_b32_e32 v11, v4
	v_lshl_add_u64 v[8:9], v[10:11], 0, v[8:9]
	v_mad_u64_u32 v[14:15], s[2:3], v7, v1, 0
	v_add_co_u32_e32 v1, vcc, v8, v14
	v_mad_u64_u32 v[10:11], s[2:3], v7, v5, 0
	s_nop 0
	v_addc_co_u32_e32 v8, vcc, v9, v15, vcc
	v_mov_b32_e32 v9, v4
	s_nop 0
	v_addc_co_u32_e32 v11, vcc, 0, v11, vcc
	v_lshl_add_u64 v[8:9], v[8:9], 0, v[10:11]
	v_mul_lo_u32 v1, s25, v8
	v_mul_lo_u32 v5, s24, v9
	v_mad_u64_u32 v[10:11], s[2:3], s24, v8, 0
	v_add3_u32 v1, v11, v5, v1
	v_sub_u32_e32 v5, v7, v1
	v_mov_b32_e32 v11, s25
	v_sub_co_u32_e32 v16, vcc, v6, v10
	v_lshl_add_u64 v[14:15], v[8:9], 0, 1
	s_nop 0
	v_subb_co_u32_e64 v5, s[2:3], v5, v11, vcc
	v_subrev_co_u32_e64 v10, s[2:3], s24, v16
	v_subb_co_u32_e32 v1, vcc, v7, v1, vcc
	s_nop 0
	v_subbrev_co_u32_e64 v5, s[2:3], 0, v5, s[2:3]
	v_cmp_le_u32_e64 s[2:3], s25, v5
	v_cmp_le_u32_e32 vcc, s25, v1
	s_nop 0
	v_cndmask_b32_e64 v11, 0, -1, s[2:3]
	v_cmp_le_u32_e64 s[2:3], s24, v10
	s_nop 1
	v_cndmask_b32_e64 v10, 0, -1, s[2:3]
	v_cmp_eq_u32_e64 s[2:3], s25, v5
	s_nop 1
	v_cndmask_b32_e64 v5, v11, v10, s[2:3]
	v_lshl_add_u64 v[10:11], v[8:9], 0, 2
	v_cmp_ne_u32_e64 s[2:3], 0, v5
	s_nop 1
	v_cndmask_b32_e64 v5, v15, v11, s[2:3]
	v_cndmask_b32_e64 v11, 0, -1, vcc
	v_cmp_le_u32_e32 vcc, s24, v16
	s_nop 1
	v_cndmask_b32_e64 v15, 0, -1, vcc
	v_cmp_eq_u32_e32 vcc, s25, v1
	s_nop 1
	v_cndmask_b32_e32 v1, v11, v15, vcc
	v_cmp_ne_u32_e32 vcc, 0, v1
	v_cndmask_b32_e64 v1, v14, v10, s[2:3]
	s_nop 0
	v_cndmask_b32_e32 v15, v9, v5, vcc
	v_cndmask_b32_e32 v14, v8, v1, vcc
.LBB0_4:                                ;   in Loop: Header=BB0_2 Depth=1
	s_andn2_saveexec_b64 s[2:3], s[26:27]
	s_cbranch_execz .LBB0_6
; %bb.5:                                ;   in Loop: Header=BB0_2 Depth=1
	v_cvt_f32_u32_e32 v1, s24
	s_sub_i32 s26, 0, s24
	v_mov_b32_e32 v15, v4
	v_rcp_iflag_f32_e32 v1, v1
	s_nop 0
	v_mul_f32_e32 v1, 0x4f7ffffe, v1
	v_cvt_u32_f32_e32 v1, v1
	v_mul_lo_u32 v5, s26, v1
	v_mul_hi_u32 v5, v1, v5
	v_add_u32_e32 v1, v1, v5
	v_mul_hi_u32 v1, v6, v1
	v_mul_lo_u32 v5, v1, s24
	v_sub_u32_e32 v5, v6, v5
	v_add_u32_e32 v8, 1, v1
	v_subrev_u32_e32 v9, s24, v5
	v_cmp_le_u32_e32 vcc, s24, v5
	s_nop 1
	v_cndmask_b32_e32 v5, v5, v9, vcc
	v_cndmask_b32_e32 v1, v1, v8, vcc
	v_add_u32_e32 v8, 1, v1
	v_cmp_le_u32_e32 vcc, s24, v5
	s_nop 1
	v_cndmask_b32_e32 v14, v1, v8, vcc
.LBB0_6:                                ;   in Loop: Header=BB0_2 Depth=1
	s_or_b64 exec, exec, s[2:3]
	v_mad_u64_u32 v[8:9], s[2:3], v14, s24, 0
	s_load_dwordx2 s[2:3], s[18:19], 0x0
	v_mul_lo_u32 v1, v15, s24
	v_mul_lo_u32 v5, v14, s25
	s_load_dwordx2 s[24:25], s[16:17], 0x0
	s_add_u32 s22, s22, 1
	v_add3_u32 v1, v9, v5, v1
	v_sub_co_u32_e32 v5, vcc, v6, v8
	s_addc_u32 s23, s23, 0
	s_nop 0
	v_subb_co_u32_e32 v1, vcc, v7, v1, vcc
	s_add_u32 s16, s16, 8
	s_waitcnt lgkmcnt(0)
	v_mul_lo_u32 v6, s2, v1
	v_mul_lo_u32 v7, s3, v5
	v_mad_u64_u32 v[2:3], s[2:3], s2, v5, v[2:3]
	s_addc_u32 s17, s17, 0
	v_add3_u32 v3, v7, v3, v6
	v_mul_lo_u32 v1, s24, v1
	v_mul_lo_u32 v6, s25, v5
	v_mad_u64_u32 v[12:13], s[2:3], s24, v5, v[12:13]
	s_add_u32 s18, s18, 8
	v_add3_u32 v13, v6, v13, v1
	s_addc_u32 s19, s19, 0
	v_mov_b64_e32 v[6:7], s[6:7]
	s_add_u32 s20, s20, 8
	v_cmp_ge_u64_e32 vcc, s[22:23], v[6:7]
	s_addc_u32 s21, s21, 0
	s_cbranch_vccnz .LBB0_9
; %bb.7:                                ;   in Loop: Header=BB0_2 Depth=1
	v_mov_b64_e32 v[6:7], v[14:15]
	s_branch .LBB0_2
.LBB0_8:
	v_mov_b64_e32 v[12:13], v[2:3]
	v_mov_b64_e32 v[14:15], v[6:7]
.LBB0_9:
	s_load_dwordx2 s[0:1], s[0:1], 0x28
	s_lshl_b64 s[16:17], s[6:7], 3
	s_add_u32 s2, s14, s16
	s_addc_u32 s3, s15, s17
                                        ; implicit-def: $sgpr14_sgpr15
                                        ; implicit-def: $vgpr72
	s_waitcnt lgkmcnt(0)
	v_cmp_gt_u64_e32 vcc, s[0:1], v[14:15]
	v_cmp_le_u64_e64 s[0:1], s[0:1], v[14:15]
	s_and_saveexec_b64 s[6:7], s[0:1]
	s_xor_b64 s[0:1], exec, s[6:7]
; %bb.10:
	s_mov_b32 s6, 0x4104105
	v_mul_hi_u32 v1, v0, s6
	v_mul_u32_u24_e32 v1, 63, v1
	v_sub_u32_e32 v72, v0, v1
	s_mov_b64 s[14:15], 0
                                        ; implicit-def: $vgpr0
                                        ; implicit-def: $vgpr2_vgpr3
; %bb.11:
	s_or_saveexec_b64 s[6:7], s[0:1]
	v_mov_b64_e32 v[6:7], s[14:15]
	v_mov_b64_e32 v[28:29], s[14:15]
	;; [unrolled: 1-line block ×10, first 2 shown]
                                        ; implicit-def: $vgpr10
                                        ; implicit-def: $vgpr36
                                        ; implicit-def: $vgpr32
                                        ; implicit-def: $vgpr34
                                        ; implicit-def: $vgpr46
                                        ; implicit-def: $vgpr44
                                        ; implicit-def: $vgpr48
                                        ; implicit-def: $vgpr50
                                        ; implicit-def: $vgpr42
                                        ; implicit-def: $vgpr40
	s_xor_b64 exec, exec, s[6:7]
	s_cbranch_execz .LBB0_13
; %bb.12:
	s_add_u32 s0, s12, s16
	s_addc_u32 s1, s13, s17
	s_load_dwordx2 s[0:1], s[0:1], 0x0
	s_mov_b32 s12, 0x4104105
	s_waitcnt lgkmcnt(0)
	v_mul_lo_u32 v1, s1, v14
	v_mul_lo_u32 v6, s0, v15
	v_mad_u64_u32 v[4:5], s[0:1], s0, v14, 0
	v_add3_u32 v5, v5, v6, v1
	v_mul_hi_u32 v1, v0, s12
	v_mul_u32_u24_e32 v1, 63, v1
	v_sub_u32_e32 v72, v0, v1
	v_lshl_add_u64 v[0:1], v[4:5], 3, s[8:9]
	v_lshl_add_u64 v[0:1], v[2:3], 3, v[0:1]
	v_lshlrev_b32_e32 v2, 3, v72
	v_mov_b32_e32 v3, 0
	v_lshl_add_u64 v[0:1], v[0:1], 0, v[2:3]
	s_movk_i32 s0, 0x1000
	v_add_co_u32_e64 v2, s[0:1], s0, v0
	s_nop 1
	v_addc_co_u32_e64 v3, s[0:1], 0, v1, s[0:1]
	global_load_dwordx2 v[40:41], v[2:3], off offset:1448
	global_load_dwordx2 v[6:7], v[0:1], off
	global_load_dwordx2 v[28:29], v[0:1], off offset:504
	global_load_dwordx2 v[8:9], v[0:1], off offset:1008
	;; [unrolled: 1-line block ×11, first 2 shown]
	s_movk_i32 s0, 0x2000
	v_add_co_u32_e64 v16, s[0:1], s0, v0
	s_nop 1
	v_addc_co_u32_e64 v17, s[0:1], 0, v1, s[0:1]
	global_load_dwordx2 v[30:31], v[0:1], off offset:4032
	global_load_dwordx2 v[10:11], v[2:3], off offset:944
	;; [unrolled: 1-line block ×7, first 2 shown]
.LBB0_13:
	s_or_b64 exec, exec, s[6:7]
	s_waitcnt vmcnt(5)
	v_sub_f32_e32 v1, v6, v10
	v_sub_f32_e32 v53, v7, v11
	;; [unrolled: 1-line block ×3, first 2 shown]
	v_fma_f32 v0, v6, 2.0, -v1
	v_fma_f32 v52, v7, 2.0, -v53
	v_sub_f32_e32 v3, v28, v40
	v_sub_f32_e32 v7, v8, v42
	v_fma_f32 v10, v4, 2.0, -v11
	v_sub_f32_e32 v17, v20, v32
	v_sub_f32_e32 v19, v22, v34
	s_waitcnt vmcnt(0)
	v_sub_f32_e32 v69, v38, v44
	v_lshl_add_u32 v4, v72, 3, 0
	v_add_u32_e32 v64, 63, v72
	v_add_u32_e32 v73, 0x7e, v72
	;; [unrolled: 1-line block ×6, first 2 shown]
	v_sub_f32_e32 v41, v29, v41
	v_fma_f32 v2, v28, 2.0, -v3
	v_fma_f32 v6, v8, 2.0, -v7
	v_fma_f32 v16, v20, 2.0, -v17
	v_fma_f32 v18, v22, 2.0, -v19
	v_sub_f32_e32 v55, v24, v50
	v_sub_f32_e32 v57, v26, v46
	;; [unrolled: 1-line block ×3, first 2 shown]
	v_fma_f32 v68, v38, 2.0, -v69
	ds_write_b64 v4, v[0:1]
	v_lshl_add_u32 v1, v64, 3, 0
	v_lshl_add_u32 v8, v73, 3, 0
	;; [unrolled: 1-line block ×5, first 2 shown]
	v_add_u32_e32 v61, 0x17a, v72
	v_add_u32_e32 v67, 0x1b9, v72
	;; [unrolled: 1-line block ×3, first 2 shown]
	v_lshl_add_u32 v36, v95, 3, 0
	v_lshlrev_b32_e32 v96, 2, v63
	v_fma_f32 v40, v29, 2.0, -v41
	v_sub_f32_e32 v29, v9, v43
	v_fma_f32 v54, v24, 2.0, -v55
	v_fma_f32 v56, v26, 2.0, -v57
	;; [unrolled: 1-line block ×3, first 2 shown]
	ds_write_b64 v1, v[2:3]
	ds_write_b64 v8, v[6:7]
	;; [unrolled: 1-line block ×5, first 2 shown]
	v_lshl_add_u32 v30, v61, 3, 0
	v_lshl_add_u32 v32, v67, 3, 0
	;; [unrolled: 1-line block ×3, first 2 shown]
	ds_write_b64 v36, v[68:69]
	v_lshl_add_u32 v65, v72, 2, 0
	v_sub_u32_e32 v68, v0, v96
	v_lshlrev_b32_e32 v97, 2, v62
	v_fma_f32 v28, v9, 2.0, -v29
	v_sub_f32_e32 v9, v5, v37
	s_load_dwordx2 s[6:7], s[2:3], 0x0
	ds_write_b64 v30, v[54:55]
	ds_write_b64 v32, v[56:57]
	;; [unrolled: 1-line block ×3, first 2 shown]
	s_waitcnt lgkmcnt(0)
	; wave barrier
	s_waitcnt lgkmcnt(0)
	v_add_u32_e32 v69, 0x800, v65
	v_add_u32_e32 v38, 0xa00, v65
	;; [unrolled: 1-line block ×3, first 2 shown]
	v_sub_u32_e32 v98, v66, v97
	ds_read_b32 v88, v68
	ds_read_b32 v89, v98
	v_add_u32_e32 v75, 0x400, v65
	v_add_u32_e32 v71, 0xe00, v65
	;; [unrolled: 1-line block ×4, first 2 shown]
	ds_read2_b32 v[76:77], v65 offset1:63
	ds_read2_b32 v[18:19], v69 offset0:118 offset1:181
	ds_read2_b32 v[86:87], v65 offset0:126 offset1:189
	;; [unrolled: 1-line block ×8, first 2 shown]
	s_waitcnt lgkmcnt(0)
	; wave barrier
	s_waitcnt lgkmcnt(0)
	ds_write_b64 v8, v[28:29]
	v_fma_f32 v8, v5, 2.0, -v9
	ds_write_b64 v20, v[8:9]
	v_sub_f32_e32 v5, v21, v33
	v_sub_f32_e32 v9, v23, v35
	ds_write_b64 v4, v[52:53]
	v_fma_f32 v4, v21, 2.0, -v5
	v_fma_f32 v8, v23, 2.0, -v9
	v_sub_f32_e32 v21, v25, v51
	v_sub_f32_e32 v23, v27, v47
	ds_write_b64 v1, v[40:41]
	v_fma_f32 v20, v25, 2.0, -v21
	v_fma_f32 v22, v27, 2.0, -v23
	v_sub_f32_e32 v25, v31, v49
	v_sub_f32_e32 v27, v39, v45
	v_and_b32_e32 v1, 1, v72
	v_fma_f32 v24, v31, 2.0, -v25
	v_fma_f32 v26, v39, 2.0, -v27
	ds_write_b64 v0, v[4:5]
	ds_write_b64 v66, v[8:9]
	;; [unrolled: 1-line block ×6, first 2 shown]
	v_lshlrev_b32_e32 v4, 3, v1
	s_waitcnt lgkmcnt(0)
	; wave barrier
	s_waitcnt lgkmcnt(0)
	global_load_dwordx2 v[32:33], v4, s[4:5]
	v_and_b32_e32 v8, 1, v95
	v_and_b32_e32 v4, 1, v64
	v_lshlrev_b32_e32 v9, 3, v8
	v_lshlrev_b32_e32 v5, 3, v4
	global_load_dword v78, v9, s[4:5] offset:4
	global_load_dwordx2 v[34:35], v9, s[4:5]
	global_load_dword v81, v5, s[4:5]
	v_and_b32_e32 v5, 1, v60
	v_lshlrev_b32_e32 v9, 3, v5
	global_load_dwordx2 v[40:41], v9, s[4:5]
	v_and_b32_e32 v9, 1, v62
	v_lshlrev_b32_e32 v20, 3, v9
	global_load_dwordx2 v[46:47], v20, s[4:5]
	;; [unrolled: 3-line block ×3, first 2 shown]
	ds_read2_b32 v[52:53], v69 offset0:118 offset1:181
	s_movk_i32 s0, 0x7c
	v_lshlrev_b32_e32 v22, 1, v72
	v_and_or_b32 v22, v22, s0, v1
	v_lshl_add_u32 v82, v22, 2, 0
	ds_read2_b32 v[54:55], v38 offset0:116 offset1:179
	ds_read_b32 v80, v68
	ds_read_b32 v79, v98
	ds_read2_b32 v[36:37], v42 offset0:120 offset1:183
	ds_read2_b32 v[48:49], v65 offset1:63
	ds_read2_b32 v[42:43], v65 offset0:126 offset1:189
	ds_read2_b32 v[58:59], v70 offset0:114 offset1:177
	;; [unrolled: 1-line block ×5, first 2 shown]
	s_waitcnt lgkmcnt(0)
	; wave barrier
	s_waitcnt lgkmcnt(0)
	s_movk_i32 s0, 0xfc
	v_lshlrev_b32_e32 v23, 1, v64
	v_and_or_b32 v4, v23, s0, v4
	v_lshl_add_u32 v83, v4, 2, 0
	s_movk_i32 s0, 0x1fc
	s_movk_i32 s1, 0x2fc
	v_cmp_lt_u32_e64 s[2:3], 41, v72
	s_waitcnt vmcnt(6)
	v_mul_f32_e32 v21, v52, v33
	v_fmac_f32_e32 v21, v18, v32
	v_sub_f32_e32 v21, v76, v21
	v_fma_f32 v22, v76, 2.0, -v21
	ds_write2_b32 v82, v22, v21 offset1:2
	s_waitcnt vmcnt(4)
	v_mul_f32_e32 v21, v53, v35
	s_waitcnt vmcnt(3)
	v_fmac_f32_e32 v21, v19, v81
	v_sub_f32_e32 v21, v77, v21
	v_fma_f32 v22, v77, 2.0, -v21
	v_mul_f32_e32 v4, v54, v33
	ds_write2_b32 v83, v22, v21 offset1:2
	v_fmac_f32_e32 v4, v16, v32
	v_lshlrev_b32_e32 v21, 1, v73
	v_sub_f32_e32 v4, v86, v4
	v_and_or_b32 v21, v21, s0, v1
	v_lshl_add_u32 v84, v21, 2, 0
	v_fma_f32 v21, v86, 2.0, -v4
	ds_write2_b32 v84, v21, v4 offset1:2
	s_waitcnt vmcnt(2)
	v_mul_f32_e32 v4, v55, v41
	v_fmac_f32_e32 v4, v17, v40
	v_lshlrev_b32_e32 v22, 1, v60
	v_sub_f32_e32 v4, v87, v4
	v_and_or_b32 v5, v22, s0, v5
	v_fma_f32 v21, v87, 2.0, -v4
	v_lshl_add_u32 v85, v5, 2, 0
	ds_write2_b32 v85, v21, v4 offset1:2
	v_mul_f32_e32 v4, v58, v33
	v_fmac_f32_e32 v4, v10, v32
	s_movk_i32 s0, 0x3fc
	v_lshlrev_b32_e32 v21, 1, v63
	v_sub_f32_e32 v4, v88, v4
	v_and_or_b32 v21, v21, s0, v1
	v_fma_f32 v5, v88, 2.0, -v4
	v_lshl_add_u32 v86, v21, 2, 0
	ds_write2_b32 v86, v5, v4 offset1:2
	s_waitcnt vmcnt(1)
	v_mul_f32_e32 v5, v59, v47
	v_lshlrev_b32_e32 v4, 1, v62
	v_fmac_f32_e32 v5, v11, v46
	v_and_or_b32 v4, v4, s1, v9
	v_sub_f32_e32 v5, v89, v5
	v_fma_f32 v9, v89, 2.0, -v5
	v_lshl_add_u32 v87, v4, 2, 0
	v_mul_f32_e32 v4, v56, v33
	ds_write2_b32 v87, v9, v5 offset1:2
	v_fmac_f32_e32 v4, v6, v32
	v_lshlrev_b32_e32 v5, 1, v61
	v_sub_f32_e32 v4, v90, v4
	v_and_or_b32 v5, v5, s0, v1
	v_lshl_add_u32 v88, v5, 2, 0
	v_fma_f32 v5, v90, 2.0, -v4
	ds_write2_b32 v88, v5, v4 offset1:2
	s_waitcnt vmcnt(0)
	v_mul_f32_e32 v4, v57, v45
	v_fmac_f32_e32 v4, v7, v44
	v_lshlrev_b32_e32 v9, 1, v67
	v_sub_f32_e32 v4, v91, v4
	v_and_or_b32 v9, v9, s0, v20
	v_fma_f32 v5, v91, 2.0, -v4
	v_lshl_add_u32 v89, v9, 2, 0
	ds_write2_b32 v89, v5, v4 offset1:2
	v_lshlrev_b32_e32 v4, 1, v94
	s_movk_i32 s0, 0x7fc
	v_and_or_b32 v1, v4, s0, v1
	v_mul_f32_e32 v4, v50, v33
	v_fmac_f32_e32 v4, v2, v32
	v_sub_f32_e32 v4, v92, v4
	v_lshl_add_u32 v90, v1, 2, 0
	v_fma_f32 v1, v92, 2.0, -v4
	ds_write2_b32 v90, v1, v4 offset1:2
	v_lshlrev_b32_e32 v1, 1, v95
	s_movk_i32 s0, 0x4fc
	v_and_or_b32 v4, v1, s0, v8
	v_mul_f32_e32 v1, v51, v78
	v_fmac_f32_e32 v1, v3, v34
	v_sub_f32_e32 v76, v93, v1
	v_fma_f32 v1, v93, 2.0, -v76
	v_lshl_add_u32 v91, v4, 2, 0
	ds_write2_b32 v91, v1, v76 offset1:2
	s_waitcnt lgkmcnt(0)
	; wave barrier
	s_waitcnt lgkmcnt(0)
	ds_read_b32 v68, v68
	ds_read_b32 v67, v98
	ds_read2_b32 v[8:9], v65 offset1:63
	ds_read2_b32 v[30:31], v75 offset0:164 offset1:227
	ds_read2_b32 v[28:29], v70 offset0:72 offset1:135
	;; [unrolled: 1-line block ×7, first 2 shown]
	v_sub_u32_e32 v93, 0, v96
	v_sub_u32_e32 v92, 0, v97
	v_cmp_gt_u32_e64 s[0:1], 42, v72
                                        ; implicit-def: $vgpr77
	s_and_saveexec_b64 s[8:9], s[0:1]
	s_cbranch_execz .LBB0_15
; %bb.14:
	ds_read_b32 v1, v65 offset:1512
	ds_read_b32 v76, v65 offset:3192
	;; [unrolled: 1-line block ×3, first 2 shown]
.LBB0_15:
	s_or_b64 exec, exec, s[8:9]
	v_mul_f32_e32 v16, v16, v33
	v_mul_f32_e32 v18, v18, v33
	;; [unrolled: 1-line block ×3, first 2 shown]
	v_fma_f32 v16, v54, v32, -v16
	v_mul_f32_e32 v17, v17, v41
	v_mul_f32_e32 v6, v6, v33
	;; [unrolled: 1-line block ×4, first 2 shown]
	v_fma_f32 v18, v52, v32, -v18
	v_fma_f32 v19, v53, v81, -v19
	;; [unrolled: 1-line block ×3, first 2 shown]
	v_mul_f32_e32 v10, v10, v33
	v_mul_f32_e32 v11, v11, v47
	v_fma_f32 v6, v56, v32, -v6
	v_fma_f32 v7, v57, v44, -v7
	;; [unrolled: 1-line block ×3, first 2 shown]
	v_mul_f32_e32 v3, v3, v78
	v_sub_f32_e32 v16, v42, v16
	v_fma_f32 v10, v58, v32, -v10
	v_fma_f32 v11, v59, v46, -v11
	;; [unrolled: 1-line block ×3, first 2 shown]
	v_sub_f32_e32 v18, v48, v18
	v_sub_f32_e32 v19, v49, v19
	v_fma_f32 v34, v42, 2.0, -v16
	v_sub_f32_e32 v17, v43, v17
	v_sub_f32_e32 v42, v38, v6
	;; [unrolled: 1-line block ×4, first 2 shown]
	v_fma_f32 v32, v48, 2.0, -v18
	v_fma_f32 v33, v49, 2.0, -v19
	;; [unrolled: 1-line block ×3, first 2 shown]
	v_sub_f32_e32 v10, v80, v10
	v_sub_f32_e32 v11, v79, v11
	v_fma_f32 v38, v38, 2.0, -v42
	v_fma_f32 v39, v39, 2.0, -v7
	;; [unrolled: 1-line block ×3, first 2 shown]
	v_sub_f32_e32 v57, v37, v3
	v_fma_f32 v40, v80, 2.0, -v10
	v_fma_f32 v41, v79, 2.0, -v11
	;; [unrolled: 1-line block ×3, first 2 shown]
	s_waitcnt lgkmcnt(0)
	; wave barrier
	s_waitcnt lgkmcnt(0)
	ds_write2_b32 v82, v32, v18 offset1:2
	ds_write2_b32 v83, v33, v19 offset1:2
	;; [unrolled: 1-line block ×10, first 2 shown]
	s_waitcnt lgkmcnt(0)
	; wave barrier
	s_waitcnt lgkmcnt(0)
	ds_read2_b32 v[18:19], v65 offset1:63
	ds_read2_b32 v[38:39], v75 offset0:164 offset1:227
	ds_read2_b32 v[36:37], v70 offset0:72 offset1:135
	;; [unrolled: 1-line block ×5, first 2 shown]
	v_add_u32_e32 v42, v0, v93
	ds_read2_b32 v[10:11], v69 offset0:160 offset1:223
	ds_read2_b32 v[2:3], v74 offset0:68 offset1:131
	v_add_u32_e32 v43, v66, v92
	ds_read_b32 v41, v42
	ds_read_b32 v40, v43
                                        ; implicit-def: $vgpr44
	s_and_saveexec_b64 s[8:9], s[0:1]
	s_cbranch_execz .LBB0_17
; %bb.16:
	ds_read_b32 v6, v65 offset:1512
	ds_read_b32 v57, v65 offset:3192
	;; [unrolled: 1-line block ×3, first 2 shown]
.LBB0_17:
	s_or_b64 exec, exec, s[8:9]
	v_and_b32_e32 v96, 3, v72
	v_and_b32_e32 v98, 3, v60
	v_lshlrev_b32_e32 v0, 4, v96
	v_and_b32_e32 v97, 3, v64
	v_lshlrev_b32_e32 v7, 4, v98
	global_load_dwordx4 v[78:81], v0, s[4:5] offset:16
	global_load_dwordx4 v[86:89], v7, s[4:5] offset:16
	v_lshlrev_b32_e32 v0, 4, v97
	v_and_b32_e32 v45, 3, v61
	v_and_b32_e32 v99, 3, v62
	global_load_dwordx4 v[82:85], v0, s[4:5] offset:16
	v_lshlrev_b32_e32 v0, 4, v45
	v_lshlrev_b32_e32 v7, 4, v99
	v_and_b32_e32 v100, 3, v73
	global_load_dwordx2 v[74:75], v0, s[4:5] offset:16
	global_load_dwordx2 v[94:95], v0, s[4:5] offset:24
	global_load_dwordx4 v[90:93], v7, s[4:5] offset:16
	global_load_dwordx2 v[70:71], v0, s[4:5] offset:20
	global_load_dword v58, v0, s[4:5] offset:28
	v_lshlrev_b32_e32 v0, 4, v100
	global_load_dword v0, v0, s[4:5] offset:16
	s_waitcnt lgkmcnt(0)
	; wave barrier
	s_waitcnt vmcnt(8) lgkmcnt(0)
	v_mul_f32_e32 v52, v38, v79
	v_mul_f32_e32 v59, v30, v79
	;; [unrolled: 1-line block ×5, first 2 shown]
	s_waitcnt vmcnt(6)
	v_mul_f32_e32 v47, v39, v83
	v_mul_f32_e32 v48, v37, v85
	;; [unrolled: 1-line block ×4, first 2 shown]
	s_waitcnt vmcnt(5)
	v_mul_f32_e32 v7, v34, v75
	v_mul_f32_e32 v75, v26, v75
	v_fmac_f32_e32 v47, v31, v82
	v_fmac_f32_e32 v48, v29, v84
	v_mul_f32_e32 v29, v20, v81
	s_waitcnt vmcnt(3)
	v_mul_f32_e32 v81, v23, v91
	v_fmac_f32_e32 v52, v30, v78
	v_mul_f32_e32 v50, v10, v79
	v_mul_f32_e32 v79, v22, v79
	v_fma_f32 v55, v39, v82, -v55
	v_fma_f32 v56, v37, v84, -v56
	v_mul_f32_e32 v37, v11, v91
	v_fma_f32 v69, v38, v78, -v59
	v_fmac_f32_e32 v53, v28, v80
	s_waitcnt vmcnt(0)
	v_fmac_f32_e32 v7, v26, v0
	v_fma_f32 v59, v34, v0, -v75
	v_fma_f32 v34, v11, v90, -v81
	v_add_f32_e32 v0, v8, v52
	v_add_f32_e32 v11, v47, v48
	v_mul_f32_e32 v46, v32, v95
	v_mul_f32_e32 v83, v57, v70
	;; [unrolled: 1-line block ×3, first 2 shown]
	v_fma_f32 v70, v36, v80, -v66
	v_fmac_f32_e32 v50, v22, v78
	v_fma_f32 v36, v10, v78, -v79
	v_add_f32_e32 v10, v9, v47
	v_add_f32_e32 v22, v0, v53
	v_fmac_f32_e32 v9, -0.5, v11
	v_sub_f32_e32 v0, v55, v56
	v_mul_f32_e32 v85, v24, v95
	v_mul_f32_e32 v51, v33, v89
	v_fmac_f32_e32 v46, v24, v71
	v_fmamk_f32 v24, v0, 0xbf5db3d7, v9
	v_fmac_f32_e32 v9, 0x3f5db3d7, v0
	v_add_f32_e32 v0, v4, v7
	v_mul_f32_e32 v49, v35, v87
	v_mul_f32_e32 v89, v25, v89
	v_fma_f32 v66, v32, v71, -v85
	v_fmac_f32_e32 v51, v25, v88
	v_add_f32_e32 v25, v0, v46
	v_add_f32_e32 v0, v7, v46
	v_fmac_f32_e32 v49, v27, v86
	v_fma_f32 v26, -0.5, v0, v4
	v_sub_f32_e32 v0, v59, v66
	v_mul_f32_e32 v87, v27, v87
	v_fmamk_f32 v27, v0, 0xbf5db3d7, v26
	v_fmac_f32_e32 v26, 0x3f5db3d7, v0
	v_add_f32_e32 v0, v5, v49
	v_mul_f32_e32 v82, v57, v74
	v_mul_f32_e32 v31, v44, v58
	;; [unrolled: 1-line block ×3, first 2 shown]
	v_fma_f32 v57, v35, v86, -v87
	v_fma_f32 v58, v33, v88, -v89
	v_add_f32_e32 v28, v0, v51
	v_add_f32_e32 v0, v49, v51
	v_fmac_f32_e32 v5, -0.5, v0
	v_sub_f32_e32 v0, v57, v58
	v_fmac_f32_e32 v54, v20, v80
	v_fma_f32 v38, v2, v80, -v29
	v_fmamk_f32 v29, v0, 0xbf5db3d7, v5
	v_fmac_f32_e32 v5, 0x3f5db3d7, v0
	v_add_f32_e32 v0, v68, v50
	v_add_f32_e32 v32, v0, v54
	;; [unrolled: 1-line block ×3, first 2 shown]
	v_mul_f32_e32 v39, v3, v93
	v_fmac_f32_e32 v37, v23, v90
	v_fmac_f32_e32 v68, -0.5, v0
	v_sub_f32_e32 v0, v36, v38
	v_mul_f32_e32 v84, v21, v93
	v_fmac_f32_e32 v39, v21, v92
	v_fmac_f32_e32 v83, v76, v74
	;; [unrolled: 1-line block ×3, first 2 shown]
	v_fmamk_f32 v33, v0, 0xbf5db3d7, v68
	v_fmac_f32_e32 v68, 0x3f5db3d7, v0
	v_add_f32_e32 v0, v67, v37
	v_fma_f32 v35, v3, v92, -v84
	v_add_f32_e32 v2, v52, v53
	v_add_f32_e32 v78, v0, v39
	;; [unrolled: 1-line block ×3, first 2 shown]
	v_fma_f32 v4, v44, v94, -v91
	v_pk_add_f32 v[20:21], v[82:83], v[30:31] neg_lo:[0,1] neg_hi:[0,1]
	v_sub_f32_e32 v3, v69, v70
	v_fma_f32 v23, -0.5, v2, v8
	v_fmac_f32_e32 v67, -0.5, v0
	v_sub_f32_e32 v0, v34, v35
	v_add_f32_e32 v2, v83, v31
	v_sub_f32_e32 v8, v20, v4
	v_fmamk_f32 v11, v3, 0xbf5db3d7, v23
	v_fmac_f32_e32 v23, 0x3f5db3d7, v3
	v_fmamk_f32 v79, v0, 0xbf5db3d7, v67
	v_fmac_f32_e32 v67, 0x3f5db3d7, v0
	v_add_f32_e32 v0, v1, v83
	v_fmac_f32_e32 v1, -0.5, v2
	v_mul_f32_e32 v3, 0x3f5db3d7, v8
	v_mov_b32_e32 v2, v31
	v_pk_add_f32 v[2:3], v[0:1], v[2:3]
	v_lshrrev_b32_e32 v0, 2, v72
	v_mul_u32_u24_e32 v0, 12, v0
	v_or_b32_e32 v0, v0, v96
	v_lshl_add_u32 v71, v0, 2, 0
	v_lshrrev_b32_e32 v0, 2, v64
	v_mul_u32_u24_e32 v0, 12, v0
	v_or_b32_e32 v0, v0, v97
	v_lshl_add_u32 v74, v0, 2, 0
	v_lshrrev_b32_e32 v0, 2, v73
	v_mul_u32_u24_e32 v0, 12, v0
	v_or_b32_e32 v0, v0, v100
	v_lshl_add_u32 v75, v0, 2, 0
	v_lshrrev_b32_e32 v0, 2, v60
	v_mul_u32_u24_e32 v0, 12, v0
	v_or_b32_e32 v0, v0, v98
	v_lshl_add_u32 v76, v0, 2, 0
	v_lshrrev_b32_e32 v0, 2, v63
	v_mul_lo_u32 v0, v0, 12
	v_or_b32_e32 v0, v0, v96
	v_lshl_add_u32 v77, v0, 2, 0
	v_lshrrev_b32_e32 v0, 2, v62
	v_mul_lo_u32 v0, v0, 12
	v_add_f32_e32 v10, v10, v48
	v_or_b32_e32 v0, v0, v99
	ds_write2_b32 v71, v22, v11 offset1:4
	ds_write_b32 v71, v23 offset:32
	ds_write2_b32 v74, v10, v24 offset1:4
	ds_write_b32 v74, v9 offset:32
	;; [unrolled: 2-line block ×5, first 2 shown]
	v_lshl_add_u32 v68, v0, 2, 0
	ds_write2_b32 v68, v78, v79 offset1:4
	ds_write_b32 v68, v67 offset:32
	s_and_saveexec_b64 s[8:9], s[2:3]
	s_xor_b64 s[8:9], exec, s[8:9]
	s_or_saveexec_b64 s[8:9], s[8:9]
	v_fmac_f32_e32 v1, 0xbf5db3d7, v8
	v_lshrrev_b32_e32 v67, 2, v61
	s_xor_b64 exec, exec, s[8:9]
	s_cbranch_execz .LBB0_19
; %bb.18:
	v_mul_u32_u24_e32 v0, 12, v67
	v_or_b32_e32 v0, v0, v45
	v_lshl_add_u32 v0, v0, 2, 0
	ds_write2_b32 v0, v2, v1 offset1:4
	ds_write_b32 v0, v3 offset:32
.LBB0_19:
	s_or_b64 exec, exec, s[8:9]
	v_add_u32_e32 v0, 0x400, v65
	s_waitcnt lgkmcnt(0)
	; wave barrier
	s_waitcnt lgkmcnt(0)
	ds_read2_b32 v[30:31], v0 offset0:164 offset1:227
	v_add_u32_e32 v0, 0xc00, v65
	ds_read2_b32 v[10:11], v65 offset1:63
	ds_read2_b32 v[32:33], v0 offset0:72 offset1:135
	ds_read2_b32 v[8:9], v65 offset0:126 offset1:189
	v_add_u32_e32 v0, 0x800, v65
	v_add_u32_e32 v5, 0xe00, v65
	ds_read2_b32 v[26:27], v0 offset0:34 offset1:97
	ds_read2_b32 v[28:29], v5 offset0:70 offset1:133
	;; [unrolled: 1-line block ×3, first 2 shown]
	v_add_u32_e32 v0, 0x1000, v65
	ds_read2_b32 v[22:23], v0 offset0:68 offset1:131
	ds_read_b32 v44, v42
	ds_read_b32 v0, v43
	s_and_saveexec_b64 s[8:9], s[0:1]
	s_cbranch_execz .LBB0_21
; %bb.20:
	ds_read_b32 v2, v65 offset:1512
	ds_read_b32 v1, v65 offset:3192
	;; [unrolled: 1-line block ×3, first 2 shown]
.LBB0_21:
	s_or_b64 exec, exec, s[8:9]
	v_add_f32_e32 v5, v18, v69
	v_add_f32_e32 v78, v5, v70
	;; [unrolled: 1-line block ×3, first 2 shown]
	v_fma_f32 v18, -0.5, v5, v18
	v_sub_f32_e32 v5, v52, v53
	v_fmamk_f32 v52, v5, 0x3f5db3d7, v18
	v_fmac_f32_e32 v18, 0xbf5db3d7, v5
	v_add_f32_e32 v5, v19, v55
	v_add_f32_e32 v53, v5, v56
	;; [unrolled: 1-line block ×3, first 2 shown]
	v_fmac_f32_e32 v19, -0.5, v5
	v_sub_f32_e32 v5, v47, v48
	v_fmamk_f32 v47, v5, 0x3f5db3d7, v19
	v_fmac_f32_e32 v19, 0xbf5db3d7, v5
	v_add_f32_e32 v5, v16, v59
	v_add_f32_e32 v48, v5, v66
	;; [unrolled: 1-line block ×3, first 2 shown]
	v_fma_f32 v16, -0.5, v5, v16
	v_sub_f32_e32 v5, v7, v46
	v_fmamk_f32 v46, v5, 0x3f5db3d7, v16
	v_fmac_f32_e32 v16, 0xbf5db3d7, v5
	v_add_f32_e32 v5, v17, v57
	v_add_f32_e32 v55, v5, v58
	v_add_f32_e32 v5, v57, v58
	v_fmac_f32_e32 v17, -0.5, v5
	v_sub_f32_e32 v5, v49, v51
	v_fmamk_f32 v49, v5, 0x3f5db3d7, v17
	v_fmac_f32_e32 v17, 0xbf5db3d7, v5
	v_add_f32_e32 v5, v41, v36
	v_add_f32_e32 v51, v5, v38
	v_add_f32_e32 v5, v36, v38
	v_fmac_f32_e32 v41, -0.5, v5
	;; [unrolled: 7-line block ×3, first 2 shown]
	v_sub_f32_e32 v5, v37, v39
	v_fmamk_f32 v39, v5, 0x3f5db3d7, v40
	v_fmac_f32_e32 v40, 0xbf5db3d7, v5
	v_mov_b32_e32 v7, 0x3f5db3d7
	v_add_f32_e32 v5, v20, v4
	v_pk_add_f32 v[36:37], v[6:7], v[20:21]
	v_pk_mul_f32 v[34:35], v[6:7], v[20:21]
	v_fmac_f32_e32 v6, -0.5, v5
	v_mov_b32_e32 v37, v35
	v_mov_b32_e32 v5, v6
	v_pk_add_f32 v[4:5], v[36:37], v[4:5]
	s_waitcnt lgkmcnt(0)
	; wave barrier
	s_waitcnt lgkmcnt(0)
	ds_write2_b32 v71, v78, v52 offset1:4
	ds_write_b32 v71, v18 offset:32
	ds_write2_b32 v74, v53, v47 offset1:4
	ds_write_b32 v74, v19 offset:32
	;; [unrolled: 2-line block ×6, first 2 shown]
	s_and_saveexec_b64 s[8:9], s[2:3]
	s_xor_b64 s[2:3], exec, s[8:9]
; %bb.22:
                                        ; implicit-def: $vgpr67
                                        ; implicit-def: $vgpr45
; %bb.23:
	s_or_saveexec_b64 s[2:3], s[2:3]
	v_sub_f32_e32 v46, v6, v35
	s_xor_b64 exec, exec, s[2:3]
	s_cbranch_execz .LBB0_25
; %bb.24:
	v_mul_u32_u24_e32 v6, 12, v67
	v_or_b32_e32 v6, v6, v45
	v_lshl_add_u32 v6, v6, 2, 0
	ds_write2_b32 v6, v4, v5 offset1:4
	ds_write_b32 v6, v46 offset:32
.LBB0_25:
	s_or_b64 exec, exec, s[2:3]
	v_add_u32_e32 v6, 0x400, v65
	s_waitcnt lgkmcnt(0)
	; wave barrier
	s_waitcnt lgkmcnt(0)
	ds_read2_b32 v[38:39], v6 offset0:164 offset1:227
	v_add_u32_e32 v6, 0xc00, v65
	ds_read2_b32 v[18:19], v65 offset1:63
	ds_read2_b32 v[40:41], v6 offset0:72 offset1:135
	ds_read2_b32 v[20:21], v65 offset0:126 offset1:189
	v_add_u32_e32 v6, 0x800, v65
	v_add_u32_e32 v7, 0xe00, v65
	ds_read2_b32 v[34:35], v6 offset0:34 offset1:97
	ds_read2_b32 v[36:37], v7 offset0:70 offset1:133
	;; [unrolled: 1-line block ×3, first 2 shown]
	v_add_u32_e32 v6, 0x1000, v65
	ds_read2_b32 v[6:7], v6 offset0:68 offset1:131
	ds_read_b32 v45, v42
	ds_read_b32 v43, v43
	s_and_saveexec_b64 s[2:3], s[0:1]
	s_cbranch_execz .LBB0_27
; %bb.26:
	ds_read_b32 v4, v65 offset:1512
	ds_read_b32 v5, v65 offset:3192
	;; [unrolled: 1-line block ×3, first 2 shown]
.LBB0_27:
	s_or_b64 exec, exec, s[2:3]
	s_movk_i32 s2, 0xab
	v_mul_lo_u16_sdwa v47, v72, s2 dst_sel:DWORD dst_unused:UNUSED_PAD src0_sel:BYTE_0 src1_sel:DWORD
	v_lshrrev_b16_e32 v58, 11, v47
	v_mul_lo_u16_sdwa v49, v64, s2 dst_sel:DWORD dst_unused:UNUSED_PAD src0_sel:BYTE_0 src1_sel:DWORD
	v_mul_lo_u16_e32 v47, 12, v58
	v_lshrrev_b16_e32 v70, 11, v49
	v_sub_u16_e32 v59, v72, v47
	v_mov_b32_e32 v47, 4
	v_mul_lo_u16_e32 v49, 12, v70
	v_lshlrev_b32_sdwa v48, v47, v59 dst_sel:DWORD dst_unused:UNUSED_PAD src0_sel:DWORD src1_sel:BYTE_0
	s_mov_b32 s3, 0xaaab
	v_mul_lo_u16_sdwa v50, v73, s2 dst_sel:DWORD dst_unused:UNUSED_PAD src0_sel:BYTE_0 src1_sel:DWORD
	v_mul_lo_u16_sdwa v51, v60, s2 dst_sel:DWORD dst_unused:UNUSED_PAD src0_sel:BYTE_0 src1_sel:DWORD
	v_sub_u16_e32 v71, v64, v49
	v_lshlrev_b32_sdwa v49, v47, v71 dst_sel:DWORD dst_unused:UNUSED_PAD src0_sel:DWORD src1_sel:BYTE_0
	global_load_dwordx4 v[66:69], v48, s[4:5] offset:80
	global_load_dwordx4 v[74:77], v49, s[4:5] offset:80
	v_mul_u32_u24_sdwa v48, v63, s3 dst_sel:DWORD dst_unused:UNUSED_PAD src0_sel:WORD_0 src1_sel:DWORD
	v_lshrrev_b16_e32 v98, 11, v50
	v_lshrrev_b16_e32 v100, 11, v51
	v_mul_lo_u16_e32 v49, 12, v98
	v_lshrrev_b32_e32 v101, 19, v48
	v_mul_lo_u16_e32 v48, 12, v100
	v_sub_u16_e32 v99, v73, v49
	v_sub_u16_e32 v102, v60, v48
	v_lshlrev_b32_sdwa v49, v47, v99 dst_sel:DWORD dst_unused:UNUSED_PAD src0_sel:DWORD src1_sel:BYTE_0
	v_lshlrev_b32_sdwa v47, v47, v102 dst_sel:DWORD dst_unused:UNUSED_PAD src0_sel:DWORD src1_sel:BYTE_0
	global_load_dwordx4 v[78:81], v49, s[4:5] offset:80
	global_load_dwordx4 v[82:85], v47, s[4:5] offset:80
	v_mul_lo_u16_e32 v47, 12, v101
	v_sub_u16_e32 v63, v63, v47
	v_mul_u32_u24_sdwa v48, v62, s3 dst_sel:DWORD dst_unused:UNUSED_PAD src0_sel:WORD_0 src1_sel:DWORD
	v_lshlrev_b32_e32 v47, 4, v63
	v_lshrrev_b32_e32 v103, 19, v48
	global_load_dwordx4 v[86:89], v47, s[4:5] offset:80
	v_mul_lo_u16_e32 v47, 12, v103
	v_sub_u16_e32 v62, v62, v47
	v_lshlrev_b32_e32 v47, 4, v62
	global_load_dwordx4 v[90:93], v47, s[4:5] offset:80
	v_mul_u32_u24_sdwa v47, v61, s3 dst_sel:DWORD dst_unused:UNUSED_PAD src0_sel:WORD_0 src1_sel:DWORD
	v_lshrrev_b32_e32 v104, 19, v47
	v_mul_lo_u16_e32 v47, 12, v104
	v_sub_u16_e32 v61, v61, v47
	v_lshlrev_b32_e32 v47, 4, v61
	global_load_dwordx4 v[94:97], v47, s[4:5] offset:80
	s_waitcnt lgkmcnt(0)
	; wave barrier
	s_waitcnt lgkmcnt(0)
	s_mov_b32 s3, 0x5040100
	s_movk_i32 s2, 0x90
	s_waitcnt vmcnt(6)
	v_mul_f32_e32 v56, v38, v67
	v_mul_f32_e32 v57, v40, v69
	v_fmac_f32_e32 v56, v30, v66
	v_mul_f32_e32 v67, v30, v67
	v_mul_f32_e32 v69, v32, v69
	v_fmac_f32_e32 v57, v32, v68
	s_waitcnt vmcnt(5)
	v_mul_f32_e32 v53, v39, v75
	v_fma_f32 v38, v38, v66, -v67
	v_fma_f32 v40, v40, v68, -v69
	v_mul_f32_e32 v55, v41, v77
	v_fmac_f32_e32 v53, v31, v74
	v_mul_f32_e32 v75, v31, v75
	s_waitcnt vmcnt(4)
	v_mul_f32_e32 v52, v34, v79
	v_mul_f32_e32 v79, v26, v79
	v_fmac_f32_e32 v52, v26, v78
	s_waitcnt vmcnt(3)
	v_mul_f32_e32 v51, v37, v85
	v_mul_f32_e32 v85, v29, v85
	v_fmac_f32_e32 v51, v29, v84
	v_mul_f32_e32 v77, v33, v77
	s_waitcnt vmcnt(2)
	v_mul_f32_e32 v50, v6, v89
	v_mul_f32_e32 v89, v22, v89
	v_fmac_f32_e32 v50, v22, v88
	v_fma_f32 v26, v6, v88, -v89
	s_waitcnt vmcnt(1)
	v_mul_f32_e32 v47, v17, v91
	v_mul_f32_e32 v91, v25, v91
	v_fma_f32 v22, v17, v90, -v91
	v_mul_f32_e32 v17, v7, v93
	v_mul_f32_e32 v6, v23, v93
	v_fmac_f32_e32 v17, v23, v92
	v_fma_f32 v23, v7, v92, -v6
	s_waitcnt vmcnt(0)
	v_mul_f32_e32 v6, v5, v95
	v_mul_f32_e32 v7, v46, v97
	v_fmac_f32_e32 v6, v1, v94
	v_mul_f32_e32 v1, v1, v95
	v_fmac_f32_e32 v7, v3, v96
	v_mul_f32_e32 v3, v3, v97
	v_fma_f32 v1, v5, v94, -v1
	v_fma_f32 v5, v46, v96, -v3
	v_add_f32_e32 v3, v10, v56
	v_fmac_f32_e32 v47, v25, v90
	v_add_f32_e32 v25, v3, v57
	v_add_f32_e32 v3, v56, v57
	v_fma_f32 v29, -0.5, v3, v10
	v_sub_f32_e32 v3, v38, v40
	v_mul_f32_e32 v49, v35, v83
	v_mul_f32_e32 v83, v27, v83
	v_fmac_f32_e32 v55, v33, v76
	v_fma_f32 v30, v34, v78, -v79
	v_fmamk_f32 v34, v3, 0xbf5db3d7, v29
	v_fmac_f32_e32 v29, 0x3f5db3d7, v3
	v_add_f32_e32 v3, v11, v53
	v_fma_f32 v32, v39, v74, -v75
	v_fma_f32 v33, v41, v76, -v77
	v_fmac_f32_e32 v49, v27, v82
	v_fma_f32 v27, v35, v82, -v83
	v_add_f32_e32 v35, v3, v55
	v_add_f32_e32 v3, v53, v55
	v_mul_f32_e32 v54, v36, v81
	v_mul_f32_e32 v81, v28, v81
	v_fmac_f32_e32 v11, -0.5, v3
	v_sub_f32_e32 v3, v32, v33
	v_fmac_f32_e32 v54, v28, v80
	v_fma_f32 v31, v36, v80, -v81
	v_fmamk_f32 v36, v3, 0xbf5db3d7, v11
	v_fmac_f32_e32 v11, 0x3f5db3d7, v3
	v_add_f32_e32 v3, v8, v52
	v_fma_f32 v28, v37, v84, -v85
	v_add_f32_e32 v37, v3, v54
	v_add_f32_e32 v3, v52, v54
	v_fma_f32 v41, -0.5, v3, v8
	v_mul_u32_u24_e32 v8, 0x90, v58
	v_mov_b32_e32 v58, 2
	v_sub_f32_e32 v3, v30, v31
	v_lshlrev_b32_sdwa v39, v58, v59 dst_sel:DWORD dst_unused:UNUSED_PAD src0_sel:DWORD src1_sel:BYTE_0
	v_fmamk_f32 v66, v3, 0xbf5db3d7, v41
	v_fmac_f32_e32 v41, 0x3f5db3d7, v3
	v_add_f32_e32 v3, v9, v49
	v_add3_u32 v8, 0, v8, v39
	v_mul_f32_e32 v48, v16, v87
	v_add_f32_e32 v67, v3, v51
	v_add_f32_e32 v3, v49, v51
	ds_write2_b32 v8, v25, v34 offset1:12
	ds_write_b32 v8, v29 offset:96
	v_mul_u32_u24_e32 v25, 0x90, v70
	v_lshlrev_b32_sdwa v29, v58, v71 dst_sel:DWORD dst_unused:UNUSED_PAD src0_sel:DWORD src1_sel:BYTE_0
	v_fmac_f32_e32 v48, v24, v86
	v_fmac_f32_e32 v9, -0.5, v3
	v_sub_f32_e32 v3, v27, v28
	v_add3_u32 v39, 0, v25, v29
	v_mul_f32_e32 v87, v24, v87
	v_fmamk_f32 v68, v3, 0xbf5db3d7, v9
	v_fmac_f32_e32 v9, 0x3f5db3d7, v3
	v_add_f32_e32 v3, v44, v48
	ds_write2_b32 v39, v35, v36 offset1:12
	ds_write_b32 v39, v11 offset:96
	v_mul_u32_u24_e32 v11, 0x90, v98
	v_lshlrev_b32_sdwa v25, v58, v99 dst_sel:DWORD dst_unused:UNUSED_PAD src0_sel:DWORD src1_sel:BYTE_0
	v_fma_f32 v24, v16, v86, -v87
	v_add_f32_e32 v69, v3, v50
	v_add_f32_e32 v3, v48, v50
	v_add3_u32 v46, 0, v11, v25
	v_mul_u32_u24_e32 v11, 0x90, v100
	v_lshlrev_b32_sdwa v25, v58, v102 dst_sel:DWORD dst_unused:UNUSED_PAD src0_sel:DWORD src1_sel:BYTE_0
	v_fmac_f32_e32 v44, -0.5, v3
	v_sub_f32_e32 v3, v24, v26
	v_add3_u32 v58, 0, v11, v25
	v_fmamk_f32 v74, v3, 0xbf5db3d7, v44
	v_fmac_f32_e32 v44, 0x3f5db3d7, v3
	v_add_f32_e32 v3, v0, v47
	ds_write2_b32 v46, v37, v66 offset1:12
	ds_write_b32 v46, v41 offset:96
	ds_write2_b32 v58, v67, v68 offset1:12
	ds_write_b32 v58, v9 offset:96
	v_perm_b32 v9, v103, v101, s3
	v_add_f32_e32 v75, v3, v17
	v_add_f32_e32 v3, v47, v17
	v_pk_mul_lo_u16 v9, v9, s2 op_sel_hi:[1,0]
	v_fmac_f32_e32 v0, -0.5, v3
	v_sub_f32_e32 v3, v22, v23
	v_and_b32_e32 v11, 0xfff0, v9
	v_lshlrev_b32_e32 v25, 2, v63
	v_fmamk_f32 v76, v3, 0xbf5db3d7, v0
	v_fmac_f32_e32 v0, 0x3f5db3d7, v3
	v_add_f32_e32 v3, v6, v7
	v_add3_u32 v59, 0, v11, v25
	v_lshrrev_b32_e32 v9, 16, v9
	v_lshlrev_b32_e32 v11, 2, v62
	v_fma_f32 v3, -0.5, v3, v2
	v_sub_f32_e32 v10, v1, v5
	ds_write2_b32 v59, v69, v74 offset1:12
	ds_write_b32 v59, v44 offset:96
	v_add3_u32 v44, 0, v9, v11
	v_fmamk_f32 v16, v10, 0x3f5db3d7, v3
	ds_write2_b32 v44, v75, v76 offset1:12
	ds_write_b32 v44, v0 offset:96
	v_mul_lo_u16_e32 v0, 36, v104
	v_lshlrev_b32_e32 v9, 2, v61
	s_and_saveexec_b64 s[2:3], s[0:1]
	s_cbranch_execz .LBB0_29
; %bb.28:
	v_mul_f32_e32 v10, 0x3f5db3d7, v10
	v_sub_f32_e32 v3, v3, v10
	v_add_f32_e32 v2, v2, v6
	v_lshlrev_b32_e32 v10, 2, v0
	v_add_f32_e32 v2, v2, v7
	v_add3_u32 v10, 0, v9, v10
	ds_write2_b32 v10, v2, v3 offset1:12
	ds_write_b32 v10, v16 offset:96
.LBB0_29:
	s_or_b64 exec, exec, s[2:3]
	v_add_f32_e32 v2, v18, v38
	v_add_f32_e32 v61, v2, v40
	;; [unrolled: 1-line block ×3, first 2 shown]
	v_fma_f32 v38, -0.5, v2, v18
	v_sub_f32_e32 v2, v56, v57
	v_fmamk_f32 v56, v2, 0x3f5db3d7, v38
	v_fmac_f32_e32 v38, 0xbf5db3d7, v2
	v_add_f32_e32 v2, v19, v32
	v_add_f32_e32 v57, v2, v33
	v_add_f32_e32 v2, v32, v33
	v_fmac_f32_e32 v19, -0.5, v2
	v_sub_f32_e32 v2, v53, v55
	v_fmamk_f32 v53, v2, 0x3f5db3d7, v19
	v_fmac_f32_e32 v19, 0xbf5db3d7, v2
	v_add_f32_e32 v2, v20, v30
	v_add_f32_e32 v55, v2, v31
	;; [unrolled: 1-line block ×3, first 2 shown]
	v_fma_f32 v62, -0.5, v2, v20
	v_sub_f32_e32 v2, v52, v54
	v_fmamk_f32 v52, v2, 0x3f5db3d7, v62
	v_fmac_f32_e32 v62, 0xbf5db3d7, v2
	v_add_f32_e32 v2, v21, v27
	v_add_f32_e32 v54, v2, v28
	v_add_f32_e32 v2, v27, v28
	v_fmac_f32_e32 v21, -0.5, v2
	v_sub_f32_e32 v2, v49, v51
	v_fmamk_f32 v49, v2, 0x3f5db3d7, v21
	v_fmac_f32_e32 v21, 0xbf5db3d7, v2
	v_add_f32_e32 v2, v45, v24
	v_add_f32_e32 v51, v2, v26
	v_add_f32_e32 v2, v24, v26
	v_fmac_f32_e32 v45, -0.5, v2
	;; [unrolled: 7-line block ×3, first 2 shown]
	v_sub_f32_e32 v2, v47, v17
	v_fmamk_f32 v47, v2, 0x3f5db3d7, v43
	v_fmac_f32_e32 v43, 0xbf5db3d7, v2
	v_add_f32_e32 v2, v1, v5
	v_add_u32_e32 v36, 0x400, v65
	v_add_u32_e32 v37, 0x800, v65
	;; [unrolled: 1-line block ×4, first 2 shown]
	v_fma_f32 v20, -0.5, v2, v4
	v_sub_f32_e32 v22, v6, v7
	s_waitcnt lgkmcnt(0)
	; wave barrier
	s_waitcnt lgkmcnt(0)
	ds_read2_b32 v[2:3], v65 offset1:63
	ds_read2_b32 v[10:11], v36 offset0:185 offset1:248
	ds_read2_b32 v[32:33], v37 offset0:181 offset1:244
	;; [unrolled: 1-line block ×8, first 2 shown]
	ds_read_b32 v17, v42
	ds_read_b32 v23, v65 offset:4788
	v_fmamk_f32 v18, v22, 0xbf5db3d7, v20
	s_waitcnt lgkmcnt(0)
	; wave barrier
	s_waitcnt lgkmcnt(0)
	ds_write2_b32 v8, v61, v56 offset1:12
	ds_write_b32 v8, v38 offset:96
	ds_write2_b32 v39, v57, v53 offset1:12
	ds_write_b32 v39, v19 offset:96
	;; [unrolled: 2-line block ×6, first 2 shown]
	s_and_saveexec_b64 s[2:3], s[0:1]
	s_cbranch_execz .LBB0_31
; %bb.30:
	v_mul_f32_e32 v8, 0x3f5db3d7, v22
	v_add_f32_e32 v1, v4, v1
	v_lshlrev_b32_e32 v0, 2, v0
	v_add_f32_e32 v1, v1, v5
	v_add_f32_e32 v4, v8, v20
	v_add3_u32 v0, 0, v9, v0
	ds_write2_b32 v0, v1, v4 offset1:12
	ds_write_b32 v0, v18 offset:96
.LBB0_31:
	s_or_b64 exec, exec, s[2:3]
	v_subrev_u32_e32 v0, 36, v72
	v_cmp_gt_u32_e64 s[0:1], 36, v72
	v_mov_b32_e32 v9, 0
	s_waitcnt lgkmcnt(0)
	v_cndmask_b32_e64 v0, v0, v72, s[0:1]
	v_lshlrev_b32_e32 v8, 2, v0
	v_lshl_add_u64 v[0:1], v[8:9], 3, s[4:5]
	; wave barrier
	global_load_dwordx4 v[44:47], v[0:1], off offset:272
	global_load_dwordx4 v[48:51], v[0:1], off offset:288
	v_mov_b32_e32 v0, 57
	v_mul_lo_u16_sdwa v4, v64, v0 dst_sel:DWORD dst_unused:UNUSED_PAD src0_sel:BYTE_0 src1_sel:DWORD
	v_lshrrev_b16_e32 v100, 11, v4
	v_mul_lo_u16_e32 v4, 36, v100
	v_mov_b32_e32 v1, 5
	v_sub_u16_e32 v9, v64, v4
	v_lshlrev_b32_sdwa v4, v1, v9 dst_sel:DWORD dst_unused:UNUSED_PAD src0_sel:DWORD src1_sel:BYTE_0
	global_load_dwordx4 v[52:55], v4, s[4:5] offset:272
	global_load_dwordx4 v[74:77], v4, s[4:5] offset:288
	v_mul_lo_u16_sdwa v4, v73, v0 dst_sel:DWORD dst_unused:UNUSED_PAD src0_sel:BYTE_0 src1_sel:DWORD
	v_mul_lo_u16_sdwa v0, v60, v0 dst_sel:DWORD dst_unused:UNUSED_PAD src0_sel:BYTE_0 src1_sel:DWORD
	v_lshrrev_b16_e32 v101, 11, v4
	v_lshrrev_b16_e32 v102, 11, v0
	v_mul_lo_u16_e32 v0, 36, v101
	v_mul_lo_u16_e32 v4, 36, v102
	v_sub_u16_e32 v19, v73, v0
	v_sub_u16_e32 v22, v60, v4
	v_lshlrev_b32_sdwa v56, v1, v19 dst_sel:DWORD dst_unused:UNUSED_PAD src0_sel:DWORD src1_sel:BYTE_0
	v_lshlrev_b32_sdwa v57, v1, v22 dst_sel:DWORD dst_unused:UNUSED_PAD src0_sel:DWORD src1_sel:BYTE_0
	global_load_dwordx4 v[78:81], v56, s[4:5] offset:272
	global_load_dwordx4 v[82:85], v57, s[4:5] offset:272
	ds_read2_b32 v[0:1], v65 offset1:63
	ds_read_b32 v58, v42
	ds_read2_b32 v[4:5], v36 offset0:185 offset1:248
	ds_read2_b32 v[20:21], v37 offset0:181 offset1:244
	;; [unrolled: 1-line block ×7, first 2 shown]
	global_load_dwordx4 v[86:89], v56, s[4:5] offset:288
	global_load_dwordx4 v[90:93], v57, s[4:5] offset:288
	v_mov_b32_e32 v59, 2
	v_lshlrev_b32_sdwa v103, v59, v9 dst_sel:DWORD dst_unused:UNUSED_PAD src0_sel:DWORD src1_sel:BYTE_0
	v_lshlrev_b32_sdwa v105, v59, v22 dst_sel:DWORD dst_unused:UNUSED_PAD src0_sel:DWORD src1_sel:BYTE_0
	;; [unrolled: 1-line block ×3, first 2 shown]
	s_mov_b32 s0, 0x3e9e377a
	s_mov_b32 s1, 0x3f167918
	v_cmp_lt_u32_e64 s[2:3], 53, v72
	s_waitcnt vmcnt(7) lgkmcnt(6)
	v_mul_f32_e32 v62, v5, v47
	s_waitcnt vmcnt(6) lgkmcnt(5)
	v_mul_f32_e32 v66, v21, v49
	v_mul_f32_e32 v63, v58, v45
	;; [unrolled: 1-line block ×5, first 2 shown]
	v_fmac_f32_e32 v62, v11, v46
	v_fmac_f32_e32 v66, v33, v48
	v_mul_f32_e32 v19, v11, v47
	s_waitcnt lgkmcnt(4)
	v_mul_f32_e32 v71, v39, v51
	v_fmac_f32_e32 v63, v17, v44
	v_fma_f32 v58, v58, v44, -v9
	v_fma_f32 v60, v21, v48, -v22
	;; [unrolled: 1-line block ×3, first 2 shown]
	s_waitcnt vmcnt(4) lgkmcnt(1)
	v_mul_f32_e32 v56, v96, v75
	v_mul_f32_e32 v17, v30, v75
	v_add_f32_e32 v22, v62, v66
	v_fma_f32 v59, v5, v46, -v19
	v_fmac_f32_e32 v71, v27, v50
	v_sub_f32_e32 v27, v58, v61
	v_fmac_f32_e32 v56, v30, v74
	v_fma_f32 v69, v96, v74, -v17
	v_fma_f32 v74, -0.5, v22, v2
	v_mul_f32_e32 v5, v28, v53
	v_sub_f32_e32 v33, v59, v60
	v_sub_f32_e32 v39, v63, v62
	;; [unrolled: 1-line block ×3, first 2 shown]
	v_fmamk_f32 v75, v27, 0xbf737871, v74
	v_fmac_f32_e32 v74, 0x3f737871, v27
	v_fma_f32 v67, v42, v52, -v5
	v_add_f32_e32 v5, v39, v44
	v_fmac_f32_e32 v75, 0xbf167918, v33
	v_fmac_f32_e32 v74, 0x3f167918, v33
	s_waitcnt lgkmcnt(0)
	v_mul_f32_e32 v57, v98, v77
	v_mul_f32_e32 v21, v24, v77
	v_fmac_f32_e32 v75, 0x3e9e377a, v5
	v_fmac_f32_e32 v74, 0x3e9e377a, v5
	v_add_f32_e32 v5, v63, v71
	v_mul_f32_e32 v11, v34, v55
	v_fmac_f32_e32 v57, v24, v76
	v_fma_f32 v70, v98, v76, -v21
	v_fma_f32 v76, -0.5, v5, v2
	v_mul_f32_e32 v19, v94, v55
	v_fma_f32 v68, v94, v54, -v11
	v_sub_f32_e32 v5, v62, v63
	v_sub_f32_e32 v11, v66, v71
	v_fmamk_f32 v77, v33, 0x3f737871, v76
	v_fmac_f32_e32 v76, 0xbf737871, v33
	v_fmac_f32_e32 v19, v34, v54
	v_add_f32_e32 v5, v5, v11
	v_fmac_f32_e32 v77, 0xbf167918, v27
	v_fmac_f32_e32 v76, 0x3f167918, v27
	v_mul_f32_e32 v9, v42, v53
	v_fmac_f32_e32 v77, 0x3e9e377a, v5
	v_fmac_f32_e32 v76, 0x3e9e377a, v5
	v_add_f32_e32 v5, v19, v56
	s_waitcnt vmcnt(2)
	v_mov_b32_e32 v11, v82
	v_mov_b32_e32 v42, v43
	v_mov_b32_e32 v43, v4
	v_mov_b32_e32 v82, v79
	v_fma_f32 v94, -0.5, v5, v3
	v_mov_b32_e32 v44, v29
	v_mov_b32_e32 v45, v10
	;; [unrolled: 1-line block ×3, first 2 shown]
	v_pk_mul_f32 v[4:5], v[42:43], v[82:83]
	v_fmac_f32_e32 v9, v28, v52
	v_sub_f32_e32 v21, v67, v70
	v_pk_fma_f32 v[28:29], v[44:45], v[10:11], v[4:5]
	v_pk_mul_f32 v[4:5], v[44:45], v[82:83]
	v_fmamk_f32 v78, v21, 0xbf737871, v94
	v_pk_fma_f32 v[10:11], v[42:43], v[10:11], v[4:5] neg_lo:[0,0,1] neg_hi:[0,0,1]
	v_sub_f32_e32 v4, v68, v69
	v_sub_f32_e32 v5, v9, v19
	;; [unrolled: 1-line block ×3, first 2 shown]
	v_fmac_f32_e32 v94, 0x3f737871, v21
	v_fmac_f32_e32 v78, 0xbf167918, v4
	v_add_f32_e32 v5, v5, v22
	v_fmac_f32_e32 v94, 0x3f167918, v4
	v_fmac_f32_e32 v78, 0x3e9e377a, v5
	;; [unrolled: 1-line block ×3, first 2 shown]
	v_add_f32_e32 v5, v9, v57
	v_add_f32_e32 v17, v3, v9
	v_fmac_f32_e32 v3, -0.5, v5
	v_fmamk_f32 v79, v4, 0x3f737871, v3
	v_fmac_f32_e32 v3, 0xbf737871, v4
	v_fmac_f32_e32 v79, 0xbf167918, v21
	;; [unrolled: 1-line block ×3, first 2 shown]
	v_mov_b32_e32 v34, v35
	v_mov_b32_e32 v35, v32
	;; [unrolled: 1-line block ×6, first 2 shown]
	v_pk_mul_f32 v[32:33], v[42:43], v[84:85]
	v_pk_mul_f32 v[44:45], v[34:35], v[84:85]
	ds_read_b32 v27, v65 offset:4788
	v_mov_b32_e32 v20, v80
	v_pk_fma_f32 v[32:33], v[34:35], v[20:21], v[32:33]
	v_pk_fma_f32 v[46:47], v[42:43], v[20:21], v[44:45] neg_lo:[0,0,1] neg_hi:[0,0,1]
	v_mov_b32_e32 v20, v31
	s_waitcnt vmcnt(0)
	v_mov_b32_e32 v31, v90
	v_mov_b32_e32 v34, v97
	;; [unrolled: 1-line block ×6, first 2 shown]
	v_pk_mul_f32 v[38:39], v[34:35], v[90:91]
	v_sub_f32_e32 v5, v19, v9
	v_sub_f32_e32 v22, v56, v57
	v_pk_fma_f32 v[52:53], v[20:21], v[30:31], v[38:39]
	v_pk_mul_f32 v[20:21], v[20:21], v[90:91]
	v_add_f32_e32 v22, v5, v22
	v_pk_fma_f32 v[48:49], v[34:35], v[30:31], v[20:21] neg_lo:[0,0,1] neg_hi:[0,0,1]
	v_mov_b32_e32 v21, v92
	v_mov_b32_e32 v26, v99
	;; [unrolled: 1-line block ×3, first 2 shown]
	v_fmac_f32_e32 v79, 0x3e9e377a, v22
	v_fmac_f32_e32 v3, 0x3e9e377a, v22
	v_mov_b32_e32 v22, v25
	v_mov_b32_e32 v20, v88
	s_waitcnt lgkmcnt(0)
	v_pk_mul_f32 v[24:25], v[26:27], v[92:93]
	v_mov_b32_e32 v30, v32
	v_pk_fma_f32 v[54:55], v[22:23], v[20:21], v[24:25]
	v_pk_mul_f32 v[22:23], v[22:23], v[92:93]
	v_mov_b32_e32 v31, v52
	v_pk_fma_f32 v[50:51], v[26:27], v[20:21], v[22:23] neg_lo:[0,0,1] neg_hi:[0,0,1]
	v_mov_b32_e32 v26, v28
	v_mov_b32_e32 v27, v54
	v_pk_add_f32 v[20:21], v[32:33], v[52:53]
	v_pk_add_f32 v[26:27], v[26:27], v[30:31] neg_lo:[0,1] neg_hi:[0,1]
	v_fma_f32 v34, -0.5, v20, v6
	v_mov_b32_e32 v20, v27
	v_pk_add_f32 v[22:23], v[46:47], v[48:49] neg_lo:[0,1] neg_hi:[0,1]
	v_pk_add_f32 v[26:27], v[26:27], v[20:21]
	v_pk_add_f32 v[24:25], v[10:11], v[50:51] neg_lo:[0,1] neg_hi:[0,1]
	v_mov_b32_e32 v27, v22
	v_fmamk_f32 v35, v24, 0xbf737871, v34
	v_pk_mul_f32 v[26:27], v[26:27], s[0:1]
	v_fmac_f32_e32 v34, 0x3f737871, v24
	v_sub_f32_e32 v20, v35, v27
	v_add_f32_e32 v44, v26, v20
	v_add_f32_e32 v20, v27, v34
	;; [unrolled: 1-line block ×3, first 2 shown]
	v_pk_add_f32 v[26:27], v[28:29], v[54:55]
	v_mov_b32_e32 v38, v7
	v_fma_f32 v45, -0.5, v26, v6
	v_fmamk_f32 v80, v22, 0x3f737871, v45
	v_fmac_f32_e32 v45, 0xbf737871, v22
	v_mul_f32_e32 v22, 0.5, v21
	v_mov_b32_e32 v39, v47
	v_mov_b32_e32 v23, v49
	v_pk_add_f32 v[38:39], v[38:39], v[22:23] neg_lo:[0,1] neg_hi:[0,1]
	v_mul_f32_e32 v30, 0x3f737871, v25
	v_mov_b32_e32 v31, 0x3f167918
	v_pk_mul_f32 v[42:43], v[38:39], s[0:1]
	v_add_f32_e32 v2, v2, v63
	v_pk_add_f32 v[22:23], v[38:39], v[30:31] neg_lo:[0,1] neg_hi:[0,1]
	v_mov_b32_e32 v42, v43
	v_fmamk_f32 v43, v25, 0x3f737871, v38
	v_add_f32_e32 v2, v2, v62
	v_mov_b32_e32 v34, v29
	v_mov_b32_e32 v35, v55
	v_pk_add_f32 v[22:23], v[22:23], v[42:43] neg_lo:[0,1] neg_hi:[0,1]
	v_pk_fma_f32 v[30:31], v[38:39], v[30:31], v[42:43]
	v_mov_b32_e32 v42, v33
	v_mov_b32_e32 v43, v53
	v_add_f32_e32 v2, v2, v66
	v_mov_b32_e32 v23, v31
	v_pk_add_f32 v[30:31], v[34:35], v[42:43] neg_lo:[0,1] neg_hi:[0,1]
	v_add_f32_e32 v38, v2, v71
	v_add_f32_e32 v2, v17, v19
	;; [unrolled: 1-line block ×4, first 2 shown]
	v_mul_f32_e32 v26, 0x3e9e377a, v21
	v_add_f32_e32 v81, v2, v57
	v_add_f32_e32 v2, v6, v28
	v_pk_add_f32 v[22:23], v[26:27], v[22:23] op_sel_hi:[0,1]
	v_add_f32_e32 v26, v7, v29
	v_fmac_f32_e32 v7, -0.5, v27
	v_sub_f32_e32 v21, v52, v54
	v_sub_f32_e32 v27, v32, v28
	v_add_f32_e32 v2, v2, v32
	v_add_f32_e32 v21, v27, v21
	v_fmac_f32_e32 v80, 0xbf167918, v24
	v_fmac_f32_e32 v45, 0x3f167918, v24
	v_add_f32_e32 v2, v2, v52
	v_pk_add_f32 v[30:31], v[42:43], v[34:35] neg_lo:[0,1] neg_hi:[0,1]
	v_fmac_f32_e32 v80, 0x3e9e377a, v21
	v_fmac_f32_e32 v45, 0x3e9e377a, v21
	v_add_f32_e32 v21, v2, v54
	v_mov_b32_e32 v2, v31
	v_pk_add_f32 v[30:31], v[30:31], v[2:3]
	v_mul_f32_e32 v27, 0x3f737871, v39
	v_mov_b32_e32 v31, v25
	v_mov_b32_e32 v6, v33
	v_pk_mul_f32 v[24:25], v[30:31], s[0:1]
	v_pk_add_f32 v[26:27], v[26:27], v[6:7]
	v_mov_b32_e32 v2, v53
	v_fmac_f32_e32 v7, 0xbf737871, v39
	v_pk_add_f32 v[34:35], v[26:27], v[2:3]
	v_pk_fma_f32 v[26:27], v[30:31], s[0:1], v[26:27] neg_lo:[1,0,0] neg_hi:[1,0,0]
	v_add_f32_e32 v2, v25, v7
	v_mov_b32_e32 v35, v27
	v_add_f32_e32 v17, v24, v2
	v_mov_b32_e32 v6, v55
	v_mov_b32_e32 v7, v24
	;; [unrolled: 1-line block ×3, first 2 shown]
	v_cmp_lt_u32_e64 s[0:1], 35, v72
	v_pk_add_f32 v[24:25], v[34:35], v[6:7]
	v_mul_u32_u24_e32 v6, 0x2d0, v100
	v_cndmask_b32_e64 v2, 0, v2, s[0:1]
	v_add3_u32 v2, 0, v2, v8
	v_add3_u32 v6, 0, v6, v103
	ds_read2_b32 v[4:5], v65 offset0:126 offset1:189
	s_waitcnt lgkmcnt(0)
	; wave barrier
	s_waitcnt lgkmcnt(0)
	ds_write2_b32 v2, v38, v75 offset1:36
	ds_write2_b32 v2, v77, v76 offset0:72 offset1:108
	ds_write_b32 v2, v74 offset:576
	ds_write2_b32 v6, v81, v78 offset1:36
	ds_write2_b32 v6, v79, v3 offset0:72 offset1:108
	ds_write_b32 v6, v94 offset:576
	v_mul_u32_u24_e32 v3, 0x2d0, v101
	v_mul_u32_u24_e32 v7, 0x2d0, v102
	v_add3_u32 v3, 0, v3, v104
	v_add3_u32 v7, 0, v7, v105
	ds_write2_b32 v3, v21, v44 offset1:36
	ds_write2_b32 v3, v80, v45 offset0:72 offset1:108
	ds_write_b32 v3, v20 offset:576
	ds_write2_b32 v7, v24, v22 offset1:36
	ds_write2_b32 v7, v25, v17 offset0:72 offset1:108
	ds_write_b32 v7, v23 offset:576
	s_waitcnt lgkmcnt(0)
	; wave barrier
	s_waitcnt lgkmcnt(0)
	ds_read2_b32 v[30:31], v65 offset1:63
	ds_read2_b32 v[34:35], v65 offset0:180 offset1:243
	ds_read2_b32 v[42:43], v36 offset0:104 offset1:167
	;; [unrolled: 1-line block ×3, first 2 shown]
	v_add_u32_e32 v8, 0xa00, v65
	ds_read2_b32 v[36:37], v8 offset0:80 offset1:143
	ds_read2_b32 v[44:45], v40 offset0:132 offset1:195
	;; [unrolled: 1-line block ×3, first 2 shown]
	v_cmp_gt_u32_e64 s[0:1], 54, v72
                                        ; implicit-def: $vgpr26_vgpr27
	s_and_saveexec_b64 s[8:9], s[2:3]
	s_xor_b64 s[8:9], exec, s[8:9]
; %bb.32:
	v_mov_b64_e32 v[26:27], v[24:25]
; %bb.33:
	s_andn2_saveexec_b64 s[8:9], s[8:9]
	s_cbranch_execz .LBB0_35
; %bb.34:
	v_add_u32_e32 v8, 0x100, v65
	ds_read2_b32 v[20:21], v8 offset0:62 offset1:242
	v_add_u32_e32 v8, 0x700, v65
	ds_read2_b32 v[22:23], v8 offset0:38 offset1:218
	;; [unrolled: 2-line block ×3, first 2 shown]
	ds_read_b32 v16, v65 offset:4824
	s_waitcnt lgkmcnt(3)
	v_mov_b32_e32 v26, v21
	s_waitcnt lgkmcnt(2)
	v_mov_b32_e32 v27, v23
	;; [unrolled: 2-line block ×3, first 2 shown]
	v_mov_b32_e32 v23, v25
	v_mov_b32_e32 v24, v21
.LBB0_35:
	s_or_b64 exec, exec, s[8:9]
	v_add_f32_e32 v8, v0, v58
	v_add_f32_e32 v8, v8, v59
	;; [unrolled: 1-line block ×5, first 2 shown]
	v_fma_f32 v25, -0.5, v8, v0
	v_sub_f32_e32 v8, v63, v71
	v_fmamk_f32 v63, v8, 0x3f737871, v25
	v_sub_f32_e32 v62, v62, v66
	v_sub_f32_e32 v66, v58, v59
	;; [unrolled: 1-line block ×3, first 2 shown]
	v_fmac_f32_e32 v25, 0xbf737871, v8
	v_fmac_f32_e32 v63, 0x3f167918, v62
	v_add_f32_e32 v66, v66, v71
	v_fmac_f32_e32 v25, 0xbf167918, v62
	v_fmac_f32_e32 v63, 0x3e9e377a, v66
	;; [unrolled: 1-line block ×3, first 2 shown]
	v_add_f32_e32 v66, v58, v61
	v_fma_f32 v0, -0.5, v66, v0
	v_fmamk_f32 v66, v62, 0xbf737871, v0
	v_fmac_f32_e32 v0, 0x3f737871, v62
	v_fmac_f32_e32 v66, 0x3f167918, v8
	;; [unrolled: 1-line block ×3, first 2 shown]
	v_add_f32_e32 v8, v1, v67
	v_add_f32_e32 v8, v8, v68
	;; [unrolled: 1-line block ×3, first 2 shown]
	v_sub_f32_e32 v58, v59, v58
	v_sub_f32_e32 v59, v60, v61
	v_add_f32_e32 v60, v8, v70
	v_add_f32_e32 v8, v68, v69
	v_fma_f32 v61, -0.5, v8, v1
	v_sub_f32_e32 v8, v9, v57
	v_fmamk_f32 v62, v8, 0x3f737871, v61
	v_sub_f32_e32 v9, v19, v56
	v_sub_f32_e32 v19, v67, v68
	;; [unrolled: 1-line block ×3, first 2 shown]
	v_fmac_f32_e32 v61, 0xbf737871, v8
	v_fmac_f32_e32 v62, 0x3f167918, v9
	v_add_f32_e32 v19, v19, v56
	v_fmac_f32_e32 v61, 0xbf167918, v9
	v_fmac_f32_e32 v62, 0x3e9e377a, v19
	;; [unrolled: 1-line block ×3, first 2 shown]
	v_add_f32_e32 v19, v67, v70
	v_fmac_f32_e32 v1, -0.5, v19
	v_fmamk_f32 v19, v9, 0xbf737871, v1
	v_fmac_f32_e32 v1, 0x3f737871, v9
	v_fmac_f32_e32 v19, 0x3f167918, v8
	v_fmac_f32_e32 v1, 0xbf167918, v8
	v_add_f32_e32 v8, v4, v10
	v_add_f32_e32 v8, v8, v46
	v_sub_f32_e32 v56, v68, v67
	v_sub_f32_e32 v57, v69, v70
	v_add_f32_e32 v8, v8, v48
	v_add_f32_e32 v56, v56, v57
	;; [unrolled: 1-line block ×3, first 2 shown]
	v_pk_add_f32 v[8:9], v[46:47], v[48:49]
	s_mov_b32 s12, 0x3f737871
	v_fmac_f32_e32 v19, 0x3e9e377a, v56
	v_fmac_f32_e32 v1, 0x3e9e377a, v56
	v_pk_fma_f32 v[8:9], -0.5, v[8:9], v[4:5] op_sel_hi:[0,1,1]
	v_pk_add_f32 v[54:55], v[28:29], v[54:55] neg_lo:[0,1] neg_hi:[0,1]
	v_pk_add_f32 v[52:53], v[32:33], v[52:53] neg_lo:[0,1] neg_hi:[0,1]
	;; [unrolled: 1-line block ×4, first 2 shown]
	s_mov_b32 s8, 0x3e9e377a
	v_add_f32_e32 v58, v58, v59
	v_pk_fma_f32 v[28:29], v[54:55], s[12:13], v[8:9] op_sel_hi:[1,0,1]
	v_pk_add_f32 v[32:33], v[32:33], v[56:57]
	v_fmac_f32_e32 v66, 0x3e9e377a, v58
	v_fmac_f32_e32 v0, 0x3e9e377a, v58
	v_pk_mul_f32 v[56:57], v[32:33], s[8:9] op_sel_hi:[1,0]
	v_fmamk_f32 v58, v52, 0x3f167918, v28
	s_mov_b32 s14, 0x3f167918
	v_add_f32_e32 v68, v56, v58
	v_pk_fma_f32 v[8:9], v[54:55], s[12:13], v[8:9] op_sel_hi:[1,0,1] neg_lo:[1,0,0] neg_hi:[1,0,0]
	v_pk_add_f32 v[58:59], v[10:11], v[50:51]
	v_pk_fma_f32 v[28:29], v[52:53], s[14:15], v[28:29] op_sel_hi:[1,0,1]
	v_pk_fma_f32 v[8:9], v[52:53], s[14:15], v[8:9] op_sel_hi:[1,0,1] neg_lo:[1,0,0] neg_hi:[1,0,0]
	v_fma_f32 v4, -0.5, v58, v4
	v_mov_b32_e32 v28, v8
	v_fmamk_f32 v58, v52, 0xbf737871, v4
	v_sub_f32_e32 v8, v48, v50
	v_sub_f32_e32 v10, v46, v10
	v_fmac_f32_e32 v4, 0x3f737871, v52
	v_fmac_f32_e32 v58, 0x3f167918, v54
	v_add_f32_e32 v8, v10, v8
	v_fmac_f32_e32 v4, 0xbf167918, v54
	v_mov_b32_e32 v48, v47
	v_mov_b32_e32 v50, v11
	v_fmac_f32_e32 v58, 0x3e9e377a, v8
	v_fmac_f32_e32 v4, 0x3e9e377a, v8
	v_add_f32_e32 v8, v5, v11
	v_fmac_f32_e32 v5, -0.5, v59
	v_pk_add_f32 v[10:11], v[48:49], v[50:51] neg_lo:[0,1] neg_hi:[0,1]
	v_add_f32_e32 v8, v8, v47
	v_pk_fma_f32 v[28:29], v[32:33], s[8:9], v[28:29] op_sel_hi:[1,0,1]
	v_add_f32_e32 v33, v57, v9
	v_fmamk_f32 v9, v53, 0xbf737871, v5
	v_mul_f32_e32 v57, 0x3f167918, v55
	v_mov_b32_e32 v56, v49
	v_add_f32_e32 v32, v10, v11
	v_fmac_f32_e32 v5, 0x3f737871, v53
	v_pk_add_f32 v[8:9], v[8:9], v[56:57]
	v_mul_f32_e32 v11, 0x3e9e377a, v32
	v_mov_b32_e32 v10, v51
	v_fmac_f32_e32 v5, 0xbf167918, v55
	v_pk_add_f32 v[46:47], v[8:9], v[10:11]
	v_fmac_f32_e32 v5, 0x3e9e377a, v32
	s_waitcnt lgkmcnt(0)
	; wave barrier
	s_waitcnt lgkmcnt(0)
	ds_write2_b32 v2, v21, v63 offset1:36
	ds_write2_b32 v2, v66, v0 offset0:72 offset1:108
	ds_write_b32 v2, v25 offset:576
	ds_write2_b32 v6, v60, v62 offset1:36
	ds_write2_b32 v6, v19, v1 offset0:72 offset1:108
	ds_write_b32 v6, v61 offset:576
	;; [unrolled: 3-line block ×4, first 2 shown]
	v_add_u32_e32 v0, 0x400, v65
	s_waitcnt lgkmcnt(0)
	; wave barrier
	s_waitcnt lgkmcnt(0)
	ds_read2_b32 v[50:51], v65 offset1:63
	ds_read2_b32 v[52:53], v65 offset0:180 offset1:243
	ds_read2_b32 v[60:61], v0 offset0:104 offset1:167
	v_add_u32_e32 v0, 0x800, v65
	ds_read2_b32 v[56:57], v0 offset0:28 offset1:91
	v_add_u32_e32 v0, 0xa00, v65
	;; [unrolled: 2-line block ×4, first 2 shown]
	ds_read2_b32 v[58:59], v0 offset0:56 offset1:119
                                        ; implicit-def: $vgpr48_vgpr49
	s_and_saveexec_b64 s[8:9], s[2:3]
	s_xor_b64 s[2:3], exec, s[8:9]
	s_cbranch_execnz .LBB0_39
; %bb.36:
	s_andn2_saveexec_b64 s[2:3], s[2:3]
	s_cbranch_execnz .LBB0_40
.LBB0_37:
	s_or_b64 exec, exec, s[2:3]
	s_and_saveexec_b64 s[2:3], vcc
	s_cbranch_execnz .LBB0_41
.LBB0_38:
	s_endpgm
.LBB0_39:
	v_mov_b32_e32 v19, v5
	v_mov_b64_e32 v[48:49], v[46:47]
                                        ; implicit-def: $vgpr65
	s_andn2_saveexec_b64 s[2:3], s[2:3]
	s_cbranch_execz .LBB0_37
.LBB0_40:
	v_add_u32_e32 v0, 0x100, v65
	v_add_u32_e32 v2, 0x700, v65
	ds_read2_b32 v[0:1], v0 offset0:62 offset1:242
	ds_read2_b32 v[2:3], v2 offset0:38 offset1:218
	v_add_u32_e32 v4, 0xd00, v65
	ds_read2_b32 v[32:33], v4 offset0:14 offset1:194
	ds_read_b32 v18, v65 offset:4824
	s_waitcnt lgkmcnt(3)
	v_mov_b32_e32 v48, v1
	s_waitcnt lgkmcnt(2)
	v_mov_b32_e32 v49, v3
	;; [unrolled: 2-line block ×3, first 2 shown]
	v_mov_b32_e32 v28, v0
	v_mov_b32_e32 v29, v2
	;; [unrolled: 1-line block ×3, first 2 shown]
	s_or_b64 exec, exec, s[2:3]
	s_and_saveexec_b64 s[2:3], vcc
	s_cbranch_execz .LBB0_38
.LBB0_41:
	v_mul_u32_u24_e32 v0, 6, v64
	v_mul_u32_u24_e32 v8, 6, v72
	v_lshlrev_b32_e32 v21, 3, v0
	v_lshlrev_b32_e32 v25, 3, v8
	global_load_dwordx4 v[0:3], v21, s[4:5] offset:1424
	global_load_dwordx4 v[4:7], v21, s[4:5] offset:1456
	;; [unrolled: 1-line block ×6, first 2 shown]
	v_mul_lo_u32 v21, s7, v14
	v_mul_lo_u32 v25, s6, v15
	v_mad_u64_u32 v[64:65], s[2:3], s6, v14, 0
	v_mov_b32_e32 v68, v38
	v_mov_b32_e32 v69, v40
	;; [unrolled: 1-line block ×4, first 2 shown]
	v_add3_u32 v65, v65, v25, v21
	s_waitcnt lgkmcnt(3)
	v_mov_b32_e32 v88, v56
	s_waitcnt lgkmcnt(0)
	v_mov_b32_e32 v89, v58
	v_mov_b32_e32 v90, v54
	;; [unrolled: 1-line block ×3, first 2 shown]
	v_lshrrev_b32_e32 v14, 2, v72
	s_mov_b32 s13, 0x16c16c17
	v_lshl_add_u64 v[64:65], v[64:65], 3, s[10:11]
	s_mov_b32 s6, 0xbeae86e6
	s_mov_b32 s10, 0x3f4a47b2
	v_mov_b32_e32 v86, v30
	v_mov_b32_e32 v87, v50
	v_mul_hi_u32 v14, v14, s13
	s_mov_b32 s7, 0x3f08b237
	s_mov_b32 s11, 0x3d64c772
	s_movk_i32 s3, 0xb4
	v_lshrrev_b32_e32 v14, 2, v14
	s_mov_b32 s8, s7
	s_mov_b32 s9, s6
	;; [unrolled: 1-line block ×5, first 2 shown]
	v_mul_lo_u32 v14, v14, s3
	s_mov_b32 s2, 0xbee1c552
	v_sub_u32_e32 v14, v72, v14
	v_mov_b32_e32 v15, 0
	v_lshl_add_u64 v[12:13], v[12:13], 3, v[64:65]
	v_lshlrev_b32_e32 v14, 3, v14
	v_lshl_add_u64 v[94:95], v[12:13], 0, v[14:15]
	s_mov_b32 s12, 0x3f3bfb3b
	s_mov_b32 s14, 0xbf5ff5aa
	v_mov_b32_e32 v50, v31
	s_waitcnt vmcnt(3)
	v_mul_f32_e32 v96, v36, v76
	s_waitcnt vmcnt(2)
	v_mul_f32_e32 v25, v60, v81
	;; [unrolled: 2-line block ×3, first 2 shown]
	v_mul_f32_e32 v34, v34, v79
	v_mul_f32_e32 v40, v42, v81
	v_mov_b32_e32 v106, v75
	v_mov_b32_e32 v107, v84
	;; [unrolled: 1-line block ×8, first 2 shown]
	v_fmac_f32_e32 v25, v42, v80
	v_fma_f32 v97, v52, v78, -v34
	v_fma_f32 v101, v60, v80, -v40
	v_pk_mul_f32 v[78:79], v[68:69], v[106:107]
	v_pk_mul_f32 v[80:81], v[92:93], v[110:111]
	v_mul_f32_e32 v98, v54, v77
	v_mul_f32_e32 v100, v38, v74
	;; [unrolled: 1-line block ×4, first 2 shown]
	v_pk_fma_f32 v[74:75], v[56:57], v[74:75], v[78:79] neg_lo:[0,0,1] neg_hi:[0,0,1]
	v_pk_fma_f32 v[78:79], v[88:89], v[104:105], v[78:79]
	v_pk_fma_f32 v[76:77], v[54:55], v[76:77], v[80:81] neg_lo:[0,0,1] neg_hi:[0,0,1]
	v_pk_fma_f32 v[80:81], v[90:91], v[108:109], v[80:81]
	v_mul_f32_e32 v32, v62, v83
	v_fma_f32 v99, v58, v84, -v36
	v_fma_f32 v103, v62, v82, -v38
	v_mov_b32_e32 v75, v79
	v_mov_b32_e32 v77, v81
	v_fmac_f32_e32 v32, v44, v82
	v_sub_f32_e32 v92, v97, v99
	v_pk_add_f32 v[96:97], v[96:97], v[98:99]
	v_pk_add_f32 v[98:99], v[100:101], v[102:103]
	;; [unrolled: 1-line block ×3, first 2 shown]
	v_add_f32_e32 v84, v25, v32
	v_mov_b32_e32 v90, v101
	v_mov_b32_e32 v91, v96
	;; [unrolled: 1-line block ×7, first 2 shown]
	v_pk_add_f32 v[88:89], v[96:97], v[98:99]
	v_pk_add_f32 v[80:81], v[76:77], v[74:75] neg_lo:[0,1] neg_hi:[0,1]
	v_pk_add_f32 v[90:91], v[90:91], v[100:101] neg_lo:[0,1] neg_hi:[0,1]
	v_pk_add_f32 v[74:75], v[104:105], v[84:85]
	v_sub_f32_e32 v83, v25, v32
	v_mov_b32_e32 v93, v91
	v_mov_b32_e32 v82, v80
	v_pk_add_f32 v[76:77], v[74:75], v[88:89]
	v_mov_b32_e32 v74, v79
	v_mov_b32_e32 v89, v99
	v_pk_add_f32 v[100:101], v[92:93], v[82:83] neg_lo:[0,1] neg_hi:[0,1]
	v_mov_b32_e32 v102, v80
	v_mov_b32_e32 v103, v91
	;; [unrolled: 1-line block ×3, first 2 shown]
	v_pk_add_f32 v[104:105], v[74:75], v[88:89] neg_lo:[0,1] neg_hi:[0,1]
	v_mov_b32_e32 v89, v97
	v_mov_b32_e32 v85, v75
	v_pk_mul_f32 v[100:101], v[100:101], s[6:7]
	v_pk_add_f32 v[102:103], v[102:103], v[82:83]
	v_mov_b32_e32 v93, v81
	v_pk_add_f32 v[80:81], v[80:81], v[90:91] neg_lo:[0,1] neg_hi:[0,1]
	v_pk_add_f32 v[86:87], v[86:87], v[76:77]
	v_pk_mul_f32 v[104:105], v[104:105], s[10:11]
	v_pk_add_f32 v[74:75], v[88:89], v[84:85] neg_lo:[0,1] neg_hi:[0,1]
	v_pk_add_f32 v[102:103], v[92:93], v[102:103]
	v_pk_mul_f32 v[90:91], v[80:81], s[8:9]
	v_pk_fma_f32 v[80:81], v[80:81], s[8:9], v[100:101]
	v_pk_mul_f32 v[88:89], v[74:75], s[16:17]
	v_pk_fma_f32 v[74:75], v[74:75], s[16:17], v[104:105]
	v_pk_fma_f32 v[76:77], v[76:77], s[18:19], v[86:87] op_sel_hi:[1,0,1] neg_lo:[1,0,0] neg_hi:[1,0,0]
	v_pk_fma_f32 v[80:81], v[102:103], s[2:3], v[80:81] op_sel_hi:[1,0,1]
	v_pk_add_f32 v[74:75], v[74:75], v[76:77]
	v_mov_b32_e32 v85, v99
	v_pk_add_f32 v[106:107], v[74:75], v[80:81]
	v_pk_add_f32 v[74:75], v[74:75], v[80:81] neg_lo:[0,1] neg_hi:[0,1]
	v_mov_b32_e32 v80, v106
	v_mov_b32_e32 v81, v75
	;; [unrolled: 1-line block ×3, first 2 shown]
	global_store_dwordx2 v[94:95], v[80:81], off offset:1440
	v_pk_add_f32 v[78:79], v[84:85], v[96:97] neg_lo:[0,1] neg_hi:[0,1]
	v_pk_add_f32 v[80:81], v[82:83], v[92:93] neg_lo:[0,1] neg_hi:[0,1]
	v_mov_b32_e32 v82, v100
	v_mov_b32_e32 v83, v91
	;; [unrolled: 1-line block ×4, first 2 shown]
	v_pk_fma_f32 v[82:83], v[80:81], s[14:15], v[82:83] op_sel_hi:[1,0,1] neg_lo:[1,0,1] neg_hi:[1,0,1]
	v_pk_fma_f32 v[84:85], v[78:79], s[12:13], v[84:85] op_sel_hi:[1,0,1] neg_lo:[1,0,1] neg_hi:[1,0,1]
	v_mul_f32_e32 v14, v45, v5
	v_pk_fma_f32 v[82:83], v[102:103], s[2:3], v[82:83] op_sel_hi:[1,0,1]
	v_pk_add_f32 v[84:85], v[84:85], v[76:77]
	v_mov_b32_e32 v91, v101
	v_mov_b32_e32 v89, v105
	v_mul_f32_e32 v21, v43, v3
	v_fma_f32 v30, v63, v4, -v14
	global_store_dwordx2 v[94:95], v[86:87], off
	v_pk_add_f32 v[86:87], v[84:85], v[82:83]
	v_pk_add_f32 v[82:83], v[84:85], v[82:83] neg_lo:[0,1] neg_hi:[0,1]
	v_pk_fma_f32 v[80:81], v[80:81], s[14:15], v[90:91] op_sel_hi:[1,0,1] neg_lo:[0,0,1] neg_hi:[0,0,1]
	v_pk_fma_f32 v[78:79], v[78:79], s[12:13], v[88:89] op_sel_hi:[1,0,1] neg_lo:[0,0,1] neg_hi:[0,0,1]
	v_add_u32_e32 v14, 63, v72
	v_fma_f32 v70, v61, v2, -v21
	v_mov_b32_e32 v84, v86
	v_mov_b32_e32 v85, v83
	v_pk_fma_f32 v[80:81], v[102:103], s[2:3], v[80:81] op_sel_hi:[1,0,1]
	v_pk_add_f32 v[76:77], v[78:79], v[76:77]
	s_movk_i32 s15, 0x1000
	v_lshrrev_b32_e32 v21, 2, v14
	global_store_dwordx2 v[94:95], v[84:85], off offset:2880
	v_pk_add_f32 v[78:79], v[76:77], v[80:81] neg_lo:[0,1] neg_hi:[0,1]
	v_pk_add_f32 v[76:77], v[76:77], v[80:81]
	v_add_co_u32_e32 v84, vcc, s15, v94
	v_mul_hi_u32 v21, v21, s13
	v_mov_b32_e32 v81, v77
	v_addc_co_u32_e32 v85, vcc, 0, v95, vcc
	v_mov_b32_e32 v77, v79
	s_movk_i32 s15, 0x2000
	v_lshrrev_b32_e32 v21, 2, v21
	global_store_dwordx2 v[84:85], v[76:77], off offset:1664
	v_add_co_u32_e32 v76, vcc, s15, v94
	v_mul_lo_u32 v25, v21, s3
	v_mov_b32_e32 v75, v107
	v_addc_co_u32_e32 v77, vcc, 0, v95, vcc
	v_sub_u32_e32 v14, v14, v25
	s_movk_i32 s13, 0x4ec
	global_store_dwordx2 v[76:77], v[74:75], off offset:448
	v_mad_u64_u32 v[74:75], s[20:21], v21, s13, v[14:15]
	v_add_u32_e32 v14, 0xb4, v74
	v_mov_b32_e32 v80, v78
	v_lshl_add_u64 v[78:79], v[14:15], 3, v[12:13]
	v_add_u32_e32 v14, 0x168, v74
	global_store_dwordx2 v[84:85], v[80:81], off offset:224
	v_mov_b32_e32 v83, v87
	v_lshl_add_u64 v[80:81], v[14:15], 3, v[12:13]
	v_add_u32_e32 v14, 0x21c, v74
	global_store_dwordx2 v[84:85], v[82:83], off offset:3104
	v_lshl_add_u64 v[82:83], v[14:15], 3, v[12:13]
	v_add_u32_e32 v14, 0x2d0, v74
	v_lshl_add_u64 v[84:85], v[14:15], 3, v[12:13]
	v_add_u32_e32 v14, 0x384, v74
	v_mov_b32_e32 v75, v15
	v_lshl_add_u64 v[86:87], v[14:15], 3, v[12:13]
	v_add_u32_e32 v14, 0x438, v74
	v_mov_b32_e32 v32, v5
	v_mov_b32_e32 v62, v5
	;; [unrolled: 1-line block ×3, first 2 shown]
	s_waitcnt vmcnt(7)
	v_mov_b32_e32 v5, v9
	v_lshl_add_u64 v[76:77], v[74:75], 3, v[12:13]
	v_lshl_add_u64 v[74:75], v[14:15], 3, v[12:13]
	v_mov_b32_e32 v14, v63
	v_mov_b32_e32 v56, v63
	;; [unrolled: 1-line block ×3, first 2 shown]
	v_pk_mul_f32 v[4:5], v[38:39], v[4:5]
	v_mul_f32_e32 v67, v59, v7
	v_pk_fma_f32 v[44:45], v[14:15], v[32:33], v[4:5]
	v_pk_fma_f32 v[4:5], v[56:57], v[62:63], v[4:5] neg_lo:[0,0,1] neg_hi:[0,0,1]
	v_mov_b32_e32 v56, v9
	v_mov_b32_e32 v40, v39
	;; [unrolled: 1-line block ×3, first 2 shown]
	v_fmac_f32_e32 v67, v41, v6
	v_mov_b32_e32 v58, v57
	v_mov_b32_e32 v57, v6
	v_pk_mul_f32 v[6:7], v[40:41], v[8:9]
	v_mul_f32_e32 v65, v53, v1
	v_pk_fma_f32 v[8:9], v[58:59], v[56:57], v[6:7]
	v_pk_fma_f32 v[6:7], v[58:59], v[56:57], v[6:7] neg_lo:[0,0,1] neg_hi:[0,0,1]
	v_mov_b32_e32 v14, v3
	v_mov_b32_e32 v60, v3
	;; [unrolled: 1-line block ×7, first 2 shown]
	v_fmac_f32_e32 v65, v35, v0
	v_mov_b32_e32 v4, v61
	v_mov_b32_e32 v54, v61
	;; [unrolled: 1-line block ×3, first 2 shown]
	v_pk_mul_f32 v[2:3], v[36:37], v[2:3]
	v_mov_b32_e32 v9, v7
	v_mov_b32_e32 v52, v55
	;; [unrolled: 1-line block ×3, first 2 shown]
	v_pk_mul_f32 v[0:1], v[34:35], v[10:11]
	v_pk_fma_f32 v[62:63], v[4:5], v[14:15], v[2:3]
	v_pk_fma_f32 v[2:3], v[54:55], v[60:61], v[2:3] neg_lo:[0,0,1] neg_hi:[0,0,1]
	v_pk_fma_f32 v[10:11], v[52:53], v[6:7], v[0:1]
	v_pk_fma_f32 v[0:1], v[52:53], v[6:7], v[0:1] neg_lo:[0,0,1] neg_hi:[0,0,1]
	v_mov_b32_e32 v45, v5
	v_mov_b32_e32 v63, v3
	;; [unrolled: 1-line block ×3, first 2 shown]
	v_pk_add_f32 v[0:1], v[10:11], v[8:9]
	v_pk_add_f32 v[6:7], v[62:63], v[44:45]
	v_add_f32_e32 v69, v70, v30
	v_add_f32_e32 v42, v65, v67
	v_mov_b32_e32 v43, v7
	v_mov_b32_e32 v68, v0
	v_pk_add_f32 v[34:35], v[42:43], v[68:69] neg_lo:[0,1] neg_hi:[0,1]
	v_mov_b32_e32 v43, v1
	v_mov_b32_e32 v68, v6
	v_pk_add_f32 v[36:37], v[0:1], v[6:7] neg_lo:[0,1] neg_hi:[0,1]
	v_pk_add_f32 v[40:41], v[42:43], v[68:69]
	v_mov_b32_e32 v1, v7
	v_mov_b32_e32 v64, v3
	;; [unrolled: 1-line block ×5, first 2 shown]
	v_pk_add_f32 v[60:61], v[62:63], v[44:45] neg_lo:[0,1] neg_hi:[0,1]
	v_pk_add_f32 v[0:1], v[0:1], v[40:41]
	v_pk_add_f32 v[40:41], v[10:11], v[8:9] neg_lo:[0,1] neg_hi:[0,1]
	v_pk_add_f32 v[2:3], v[64:65], v[66:67] neg_lo:[0,1] neg_hi:[0,1]
	;; [unrolled: 1-line block ×3, first 2 shown]
	v_mov_b32_e32 v8, v41
	v_mov_b32_e32 v9, v5
	;; [unrolled: 1-line block ×4, first 2 shown]
	v_pk_add_f32 v[8:9], v[8:9], v[10:11] neg_lo:[0,1] neg_hi:[0,1]
	v_pk_add_f32 v[10:11], v[2:3], v[4:5] neg_lo:[0,1] neg_hi:[0,1]
	v_mov_b32_e32 v44, v2
	v_mov_b32_e32 v45, v5
	;; [unrolled: 1-line block ×3, first 2 shown]
	v_pk_mul_f32 v[34:35], v[34:35], s[10:11]
	v_pk_add_f32 v[6:7], v[50:51], v[0:1]
	v_pk_mul_f32 v[8:9], v[8:9], s[6:7]
	v_pk_add_f32 v[44:45], v[44:45], v[4:5]
	v_mov_b32_e32 v2, v41
	v_pk_mul_f32 v[38:39], v[36:37], s[16:17]
	v_pk_fma_f32 v[36:37], v[36:37], s[16:17], v[34:35]
	v_pk_fma_f32 v[0:1], v[0:1], s[18:19], v[6:7] op_sel_hi:[1,0,1] neg_lo:[1,0,0] neg_hi:[1,0,0]
	v_pk_mul_f32 v[30:31], v[10:11], s[8:9]
	v_pk_fma_f32 v[10:11], v[10:11], s[8:9], v[8:9]
	v_pk_add_f32 v[40:41], v[2:3], v[44:45]
	v_pk_add_f32 v[36:37], v[36:37], v[0:1]
	v_pk_fma_f32 v[10:11], v[40:41], s[2:3], v[10:11] op_sel_hi:[1,0,1]
	global_store_dwordx2 v[76:77], v[6:7], off
	v_pk_add_f32 v[44:45], v[36:37], v[10:11] neg_lo:[0,1] neg_hi:[0,1]
	v_pk_add_f32 v[10:11], v[36:37], v[10:11]
	v_mov_b32_e32 v7, v45
	v_mov_b32_e32 v6, v10
	global_store_dwordx2 v[78:79], v[6:7], off
	v_mov_b32_e32 v6, v34
	v_mov_b32_e32 v7, v39
	v_pk_add_f32 v[36:37], v[68:69], v[42:43] neg_lo:[0,1] neg_hi:[0,1]
	v_pk_add_f32 v[2:3], v[4:5], v[2:3] neg_lo:[0,1] neg_hi:[0,1]
	v_mov_b32_e32 v4, v8
	v_mov_b32_e32 v5, v31
	v_pk_fma_f32 v[6:7], v[36:37], s[12:13], v[6:7] op_sel_hi:[1,0,1] neg_lo:[1,0,1] neg_hi:[1,0,1]
	v_pk_fma_f32 v[4:5], v[2:3], s[14:15], v[4:5] op_sel_hi:[1,0,1] neg_lo:[1,0,1] neg_hi:[1,0,1]
	v_pk_add_f32 v[6:7], v[6:7], v[0:1]
	v_pk_fma_f32 v[4:5], v[40:41], s[2:3], v[4:5] op_sel_hi:[1,0,1]
	v_mov_b32_e32 v31, v9
	v_pk_add_f32 v[42:43], v[6:7], v[4:5] neg_lo:[0,1] neg_hi:[0,1]
	v_pk_add_f32 v[4:5], v[6:7], v[4:5]
	v_mov_b32_e32 v7, v43
	v_mov_b32_e32 v6, v4
	;; [unrolled: 1-line block ×3, first 2 shown]
	global_store_dwordx2 v[80:81], v[6:7], off
	v_pk_fma_f32 v[2:3], v[2:3], s[14:15], v[30:31] op_sel_hi:[1,0,1] neg_lo:[0,0,1] neg_hi:[0,0,1]
	v_pk_fma_f32 v[6:7], v[36:37], s[12:13], v[38:39] op_sel_hi:[1,0,1] neg_lo:[0,0,1] neg_hi:[0,0,1]
	v_pk_fma_f32 v[2:3], v[40:41], s[2:3], v[2:3] op_sel_hi:[1,0,1]
	v_pk_add_f32 v[0:1], v[6:7], v[0:1]
	v_mov_b32_e32 v43, v5
	v_pk_add_f32 v[6:7], v[0:1], v[2:3]
	v_pk_add_f32 v[0:1], v[0:1], v[2:3] neg_lo:[0,1] neg_hi:[0,1]
	v_mov_b32_e32 v3, v7
	v_mov_b32_e32 v2, v0
	v_add_u32_e32 v0, 0x7e, v72
	v_mov_b32_e32 v7, v1
	v_mov_b32_e32 v45, v11
	v_cmp_gt_u32_e32 vcc, s3, v0
	global_store_dwordx2 v[82:83], v[2:3], off
	global_store_dwordx2 v[84:85], v[6:7], off
	global_store_dwordx2 v[86:87], v[42:43], off
	global_store_dwordx2 v[74:75], v[44:45], off
	s_and_b64 exec, exec, vcc
	s_cbranch_execz .LBB0_38
; %bb.42:
	v_subrev_u32_e32 v1, 54, v72
	v_cndmask_b32_e64 v1, v1, v73, s[0:1]
	v_mul_i32_i24_e32 v14, 6, v1
	v_lshl_add_u64 v[10:11], v[14:15], 3, s[4:5]
	global_load_dwordx4 v[2:5], v[10:11], off offset:1424
	global_load_dwordx4 v[6:9], v[10:11], off offset:1440
	;; [unrolled: 1-line block ×3, first 2 shown]
	v_mov_b32_e32 v32, v29
	v_mov_b32_e32 v10, v22
	v_mov_b32_e32 v11, v27
	v_mov_b32_e32 v14, v49
	v_mov_b32_e32 v30, v49
	v_mov_b32_e32 v31, v29
	s_mov_b32 s0, 0xbf955555
	s_waitcnt vmcnt(2)
	v_mul_f32_e32 v1, v24, v3
	s_waitcnt vmcnt(1)
	v_mov_b32_e32 v39, v6
	s_waitcnt vmcnt(0)
	v_mul_f32_e32 v21, v16, v37
	v_mov_b32_e32 v24, v7
	v_mov_b32_e32 v42, v7
	;; [unrolled: 1-line block ×14, first 2 shown]
	v_fma_f32 v8, v46, v2, -v1
	v_fma_f32 v36, v18, v36, -v21
	v_pk_mul_f32 v[6:7], v[32:33], v[6:7]
	v_mov_b32_e32 v43, v4
	v_mov_b32_e32 v52, v37
	v_pk_mul_f32 v[10:11], v[10:11], v[38:39]
	v_pk_mul_f32 v[2:3], v[26:27], v[2:3]
	;; [unrolled: 1-line block ×3, first 2 shown]
	v_add_f32_e32 v25, v8, v36
	v_pk_fma_f32 v[4:5], v[22:23], v[4:5], v[6:7]
	v_mov_b32_e32 v22, v17
	v_mov_b32_e32 v40, v9
	v_mov_b32_e32 v32, v19
	v_pk_fma_f32 v[38:39], v[14:15], v[24:25], v[10:11] op_sel:[0,0,1] op_sel_hi:[1,1,0]
	v_pk_fma_f32 v[10:11], v[30:31], v[42:43], v[10:11] op_sel:[0,0,1] op_sel_hi:[1,1,0] neg_lo:[0,0,1] neg_hi:[0,0,1]
	v_pk_fma_f32 v[30:31], v[48:49], v[44:45], v[2:3]
	v_pk_fma_f32 v[2:3], v[48:49], v[44:45], v[2:3] neg_lo:[0,0,1] neg_hi:[0,0,1]
	v_pk_fma_f32 v[6:7], v[18:19], v[52:53], v[26:27]
	v_pk_fma_f32 v[16:17], v[18:19], v[52:53], v[26:27] neg_lo:[0,0,1] neg_hi:[0,0,1]
	v_pk_mul_f32 v[18:19], v[22:23], v[34:35]
	v_mov_b32_e32 v31, v3
	v_mov_b32_e32 v2, v5
	;; [unrolled: 1-line block ×4, first 2 shown]
	v_pk_fma_f32 v[26:27], v[32:33], v[40:41], v[18:19]
	v_pk_fma_f32 v[18:19], v[32:33], v[40:41], v[18:19] neg_lo:[0,0,1] neg_hi:[0,0,1]
	v_mov_b32_e32 v39, v11
	v_mov_b32_e32 v7, v17
	v_mov_b32_e32 v10, v11
	v_mov_b32_e32 v11, v4
	v_pk_add_f32 v[32:33], v[4:5], v[2:3]
	v_mov_b32_e32 v27, v19
	v_mov_b32_e32 v4, v19
	;; [unrolled: 1-line block ×6, first 2 shown]
	v_pk_add_f32 v[6:7], v[30:31], v[6:7]
	v_mov_b32_e32 v17, v26
	v_pk_add_f32 v[4:5], v[10:11], v[4:5] neg_lo:[0,1] neg_hi:[0,1]
	v_pk_add_f32 v[10:11], v[38:39], v[26:27]
	v_pk_add_f32 v[8:9], v[8:9], v[36:37] neg_lo:[0,1] neg_hi:[0,1]
	v_mov_b32_e32 v24, v6
	v_pk_add_f32 v[16:17], v[16:17], v[22:23] neg_lo:[0,1] neg_hi:[0,1]
	v_mov_b32_e32 v33, v11
	v_mov_b32_e32 v18, v32
	;; [unrolled: 1-line block ×6, first 2 shown]
	v_pk_add_f32 v[22:23], v[6:7], v[10:11] neg_lo:[0,1] neg_hi:[0,1]
	v_pk_add_f32 v[26:27], v[16:17], v[4:5]
	v_mov_b32_e32 v30, v16
	v_mov_b32_e32 v36, v4
	;; [unrolled: 1-line block ×6, first 2 shown]
	v_pk_add_f32 v[6:7], v[32:33], v[24:25]
	v_pk_add_f32 v[2:3], v[2:3], v[18:19] neg_lo:[0,1] neg_hi:[0,1]
	v_pk_add_f32 v[18:19], v[30:31], v[36:37] neg_lo:[0,1] neg_hi:[0,1]
	;; [unrolled: 1-line block ×3, first 2 shown]
	v_pk_add_f32 v[6:7], v[10:11], v[6:7]
	v_mov_b32_e32 v21, v28
	v_pk_add_f32 v[10:11], v[20:21], v[6:7]
	v_pk_mul_f32 v[2:3], v[2:3], s[16:17]
	v_pk_mul_f32 v[20:21], v[22:23], s[10:11]
	;; [unrolled: 1-line block ×4, first 2 shown]
	v_pk_add_f32 v[26:27], v[26:27], v[8:9]
	v_pk_fma_f32 v[6:7], v[6:7], s[0:1], v[10:11] op_sel_hi:[1,0,1]
	v_pk_fma_f32 v[22:23], v[22:23], s[10:11], v[2:3]
	v_pk_fma_f32 v[16:17], v[16:17], s[6:7], v[18:19]
	v_pk_add_f32 v[24:25], v[32:33], v[24:25] neg_lo:[0,1] neg_hi:[0,1]
	v_pk_add_f32 v[4:5], v[4:5], v[8:9] neg_lo:[0,1] neg_hi:[0,1]
	v_mov_b32_e32 v8, v20
	v_mov_b32_e32 v9, v3
	;; [unrolled: 1-line block ×6, first 2 shown]
	v_pk_add_f32 v[22:23], v[22:23], v[6:7]
	v_pk_fma_f32 v[16:17], v[26:27], s[2:3], v[16:17] op_sel_hi:[1,0,1]
	v_pk_fma_f32 v[8:9], v[24:25], s[12:13], v[8:9] op_sel_hi:[1,0,1] neg_lo:[1,0,1] neg_hi:[1,0,1]
	v_pk_fma_f32 v[30:31], v[4:5], s[14:15], v[30:31] op_sel_hi:[1,0,1] neg_lo:[1,0,1] neg_hi:[1,0,1]
	;; [unrolled: 1-line block ×4, first 2 shown]
	v_mov_b32_e32 v1, v15
	v_pk_add_f32 v[8:9], v[8:9], v[6:7]
	v_pk_add_f32 v[2:3], v[2:3], v[6:7]
	v_pk_fma_f32 v[4:5], v[26:27], s[2:3], v[4:5] op_sel_hi:[1,0,1]
	v_pk_fma_f32 v[6:7], v[26:27], s[2:3], v[30:31] op_sel_hi:[1,0,1]
	v_pk_add_f32 v[18:19], v[22:23], v[16:17]
	v_pk_add_f32 v[16:17], v[22:23], v[16:17] neg_lo:[0,1] neg_hi:[0,1]
	v_lshl_add_u64 v[0:1], v[0:1], 3, v[12:13]
	v_add_u32_e32 v14, 0x132, v72
	v_pk_add_f32 v[20:21], v[8:9], v[6:7]
	v_pk_add_f32 v[6:7], v[8:9], v[6:7] neg_lo:[0,1] neg_hi:[0,1]
	v_pk_add_f32 v[8:9], v[2:3], v[4:5] neg_lo:[0,1] neg_hi:[0,1]
	v_pk_add_f32 v[2:3], v[2:3], v[4:5]
	global_store_dwordx2 v[0:1], v[10:11], off
	v_lshl_add_u64 v[0:1], v[14:15], 3, v[12:13]
	v_mov_b32_e32 v4, v18
	v_mov_b32_e32 v5, v17
	v_add_u32_e32 v14, 0x1e6, v72
	global_store_dwordx2 v[0:1], v[4:5], off
	v_lshl_add_u64 v[0:1], v[14:15], 3, v[12:13]
	v_mov_b32_e32 v4, v20
	v_mov_b32_e32 v5, v7
	v_add_u32_e32 v14, 0x29a, v72
	;; [unrolled: 5-line block ×3, first 2 shown]
	global_store_dwordx2 v[0:1], v[4:5], off
	v_lshl_add_u64 v[0:1], v[14:15], 3, v[12:13]
	v_mov_b32_e32 v3, v9
	v_add_u32_e32 v14, 0x402, v72
	global_store_dwordx2 v[0:1], v[2:3], off
	v_lshl_add_u64 v[0:1], v[14:15], 3, v[12:13]
	v_mov_b32_e32 v7, v21
	v_add_u32_e32 v14, 0x4b6, v72
	global_store_dwordx2 v[0:1], v[6:7], off
	v_lshl_add_u64 v[0:1], v[14:15], 3, v[12:13]
	v_mov_b32_e32 v17, v19
	global_store_dwordx2 v[0:1], v[16:17], off
	s_endpgm
	.section	.rodata,"a",@progbits
	.p2align	6, 0x0
	.amdhsa_kernel fft_rtc_back_len1260_factors_2_2_3_3_5_7_wgs_63_tpt_63_halfLds_sp_op_CI_CI_unitstride_sbrr_dirReg
		.amdhsa_group_segment_fixed_size 0
		.amdhsa_private_segment_fixed_size 0
		.amdhsa_kernarg_size 104
		.amdhsa_user_sgpr_count 2
		.amdhsa_user_sgpr_dispatch_ptr 0
		.amdhsa_user_sgpr_queue_ptr 0
		.amdhsa_user_sgpr_kernarg_segment_ptr 1
		.amdhsa_user_sgpr_dispatch_id 0
		.amdhsa_user_sgpr_kernarg_preload_length 0
		.amdhsa_user_sgpr_kernarg_preload_offset 0
		.amdhsa_user_sgpr_private_segment_size 0
		.amdhsa_uses_dynamic_stack 0
		.amdhsa_enable_private_segment 0
		.amdhsa_system_sgpr_workgroup_id_x 1
		.amdhsa_system_sgpr_workgroup_id_y 0
		.amdhsa_system_sgpr_workgroup_id_z 0
		.amdhsa_system_sgpr_workgroup_info 0
		.amdhsa_system_vgpr_workitem_id 0
		.amdhsa_next_free_vgpr 112
		.amdhsa_next_free_sgpr 28
		.amdhsa_accum_offset 112
		.amdhsa_reserve_vcc 1
		.amdhsa_float_round_mode_32 0
		.amdhsa_float_round_mode_16_64 0
		.amdhsa_float_denorm_mode_32 3
		.amdhsa_float_denorm_mode_16_64 3
		.amdhsa_dx10_clamp 1
		.amdhsa_ieee_mode 1
		.amdhsa_fp16_overflow 0
		.amdhsa_tg_split 0
		.amdhsa_exception_fp_ieee_invalid_op 0
		.amdhsa_exception_fp_denorm_src 0
		.amdhsa_exception_fp_ieee_div_zero 0
		.amdhsa_exception_fp_ieee_overflow 0
		.amdhsa_exception_fp_ieee_underflow 0
		.amdhsa_exception_fp_ieee_inexact 0
		.amdhsa_exception_int_div_zero 0
	.end_amdhsa_kernel
	.text
.Lfunc_end0:
	.size	fft_rtc_back_len1260_factors_2_2_3_3_5_7_wgs_63_tpt_63_halfLds_sp_op_CI_CI_unitstride_sbrr_dirReg, .Lfunc_end0-fft_rtc_back_len1260_factors_2_2_3_3_5_7_wgs_63_tpt_63_halfLds_sp_op_CI_CI_unitstride_sbrr_dirReg
                                        ; -- End function
	.section	.AMDGPU.csdata,"",@progbits
; Kernel info:
; codeLenInByte = 13024
; NumSgprs: 34
; NumVgprs: 112
; NumAgprs: 0
; TotalNumVgprs: 112
; ScratchSize: 0
; MemoryBound: 0
; FloatMode: 240
; IeeeMode: 1
; LDSByteSize: 0 bytes/workgroup (compile time only)
; SGPRBlocks: 4
; VGPRBlocks: 13
; NumSGPRsForWavesPerEU: 34
; NumVGPRsForWavesPerEU: 112
; AccumOffset: 112
; Occupancy: 4
; WaveLimiterHint : 1
; COMPUTE_PGM_RSRC2:SCRATCH_EN: 0
; COMPUTE_PGM_RSRC2:USER_SGPR: 2
; COMPUTE_PGM_RSRC2:TRAP_HANDLER: 0
; COMPUTE_PGM_RSRC2:TGID_X_EN: 1
; COMPUTE_PGM_RSRC2:TGID_Y_EN: 0
; COMPUTE_PGM_RSRC2:TGID_Z_EN: 0
; COMPUTE_PGM_RSRC2:TIDIG_COMP_CNT: 0
; COMPUTE_PGM_RSRC3_GFX90A:ACCUM_OFFSET: 27
; COMPUTE_PGM_RSRC3_GFX90A:TG_SPLIT: 0
	.text
	.p2alignl 6, 3212836864
	.fill 256, 4, 3212836864
	.type	__hip_cuid_c9d9b0769d2df55a,@object ; @__hip_cuid_c9d9b0769d2df55a
	.section	.bss,"aw",@nobits
	.globl	__hip_cuid_c9d9b0769d2df55a
__hip_cuid_c9d9b0769d2df55a:
	.byte	0                               ; 0x0
	.size	__hip_cuid_c9d9b0769d2df55a, 1

	.ident	"AMD clang version 19.0.0git (https://github.com/RadeonOpenCompute/llvm-project roc-6.4.0 25133 c7fe45cf4b819c5991fe208aaa96edf142730f1d)"
	.section	".note.GNU-stack","",@progbits
	.addrsig
	.addrsig_sym __hip_cuid_c9d9b0769d2df55a
	.amdgpu_metadata
---
amdhsa.kernels:
  - .agpr_count:     0
    .args:
      - .actual_access:  read_only
        .address_space:  global
        .offset:         0
        .size:           8
        .value_kind:     global_buffer
      - .offset:         8
        .size:           8
        .value_kind:     by_value
      - .actual_access:  read_only
        .address_space:  global
        .offset:         16
        .size:           8
        .value_kind:     global_buffer
      - .actual_access:  read_only
        .address_space:  global
        .offset:         24
        .size:           8
        .value_kind:     global_buffer
      - .actual_access:  read_only
        .address_space:  global
        .offset:         32
        .size:           8
        .value_kind:     global_buffer
      - .offset:         40
        .size:           8
        .value_kind:     by_value
      - .actual_access:  read_only
        .address_space:  global
        .offset:         48
        .size:           8
        .value_kind:     global_buffer
      - .actual_access:  read_only
        .address_space:  global
        .offset:         56
        .size:           8
        .value_kind:     global_buffer
      - .offset:         64
        .size:           4
        .value_kind:     by_value
      - .actual_access:  read_only
        .address_space:  global
        .offset:         72
        .size:           8
        .value_kind:     global_buffer
      - .actual_access:  read_only
        .address_space:  global
        .offset:         80
        .size:           8
        .value_kind:     global_buffer
      - .actual_access:  read_only
        .address_space:  global
        .offset:         88
        .size:           8
        .value_kind:     global_buffer
      - .actual_access:  write_only
        .address_space:  global
        .offset:         96
        .size:           8
        .value_kind:     global_buffer
    .group_segment_fixed_size: 0
    .kernarg_segment_align: 8
    .kernarg_segment_size: 104
    .language:       OpenCL C
    .language_version:
      - 2
      - 0
    .max_flat_workgroup_size: 63
    .name:           fft_rtc_back_len1260_factors_2_2_3_3_5_7_wgs_63_tpt_63_halfLds_sp_op_CI_CI_unitstride_sbrr_dirReg
    .private_segment_fixed_size: 0
    .sgpr_count:     34
    .sgpr_spill_count: 0
    .symbol:         fft_rtc_back_len1260_factors_2_2_3_3_5_7_wgs_63_tpt_63_halfLds_sp_op_CI_CI_unitstride_sbrr_dirReg.kd
    .uniform_work_group_size: 1
    .uses_dynamic_stack: false
    .vgpr_count:     112
    .vgpr_spill_count: 0
    .wavefront_size: 64
amdhsa.target:   amdgcn-amd-amdhsa--gfx950
amdhsa.version:
  - 1
  - 2
...

	.end_amdgpu_metadata
